;; amdgpu-corpus repo=ROCm/rocFFT kind=compiled arch=gfx1201 opt=O3
	.text
	.amdgcn_target "amdgcn-amd-amdhsa--gfx1201"
	.amdhsa_code_object_version 6
	.protected	bluestein_single_fwd_len1600_dim1_dp_op_CI_CI ; -- Begin function bluestein_single_fwd_len1600_dim1_dp_op_CI_CI
	.globl	bluestein_single_fwd_len1600_dim1_dp_op_CI_CI
	.p2align	8
	.type	bluestein_single_fwd_len1600_dim1_dp_op_CI_CI,@function
bluestein_single_fwd_len1600_dim1_dp_op_CI_CI: ; @bluestein_single_fwd_len1600_dim1_dp_op_CI_CI
; %bb.0:
	s_load_b128 s[12:15], s[0:1], 0x28
	v_mul_u32_u24_e32 v1, 0x290, v0
	v_mov_b32_e32 v6, 0
	s_mov_b32 s2, exec_lo
	s_delay_alu instid0(VALU_DEP_2) | instskip(NEXT) | instid1(VALU_DEP_1)
	v_lshrrev_b32_e32 v2, 16, v1
	v_lshl_add_u32 v5, ttmp9, 1, v2
	s_wait_kmcnt 0x0
	s_delay_alu instid0(VALU_DEP_1)
	v_cmpx_gt_u64_e64 s[12:13], v[5:6]
	s_cbranch_execz .LBB0_23
; %bb.1:
	s_clause 0x1
	s_load_b128 s[4:7], s[0:1], 0x18
	s_load_b64 s[12:13], s[0:1], 0x0
	v_mul_lo_u16 v1, 0x64, v2
	s_delay_alu instid0(VALU_DEP_1) | instskip(NEXT) | instid1(VALU_DEP_1)
	v_sub_nc_u16 v35, v0, v1
	v_and_b32_e32 v8, 0xffff, v35
	s_delay_alu instid0(VALU_DEP_1)
	v_or_b32_e32 v15, 0x280, v8
	s_wait_kmcnt 0x0
	s_load_b128 s[8:11], s[4:5], 0x0
	scratch_store_b32 off, v15, off offset:12 ; 4-byte Folded Spill
	s_wait_kmcnt 0x0
	v_mad_co_u64_u32 v[0:1], null, s10, v5, 0
	s_mul_u64 s[2:3], s[8:9], 0xa0
	s_delay_alu instid0(SALU_CYCLE_1) | instskip(SKIP_4) | instid1(VALU_DEP_1)
	s_lshl_b64 s[16:17], s[2:3], 4
	s_mul_i32 s2, s9, 0x1400
	v_mov_b32_e32 v6, v5
	scratch_store_b64 off, v[6:7], off offset:4 ; 8-byte Folded Spill
	v_mad_co_u64_u32 v[5:6], null, s11, v5, v[1:2]
	v_mov_b32_e32 v1, v5
	v_mad_co_u64_u32 v[3:4], null, s8, v8, 0
	v_or_b32_e32 v9, 0x500, v8
	scratch_store_b32 off, v8, off          ; 4-byte Folded Spill
	v_lshlrev_b64_e32 v[0:1], 4, v[0:1]
	scratch_store_b32 off, v9, off offset:16 ; 4-byte Folded Spill
	v_mad_co_u64_u32 v[6:7], null, s9, v8, v[4:5]
	v_add_co_u32 v10, vcc_lo, s14, v0
	v_add_co_ci_u32_e32 v24, vcc_lo, s15, v1, vcc_lo
	s_delay_alu instid0(VALU_DEP_3) | instskip(SKIP_3) | instid1(VALU_DEP_4)
	v_mov_b32_e32 v4, v6
	v_mad_co_u64_u32 v[5:6], null, s8, v9, 0
	v_lshlrev_b32_e32 v36, 4, v8
	v_mad_co_u64_u32 v[7:8], null, s8, v15, 0
	v_lshlrev_b64_e32 v[3:4], 4, v[3:4]
	s_delay_alu instid0(VALU_DEP_4)
	v_mov_b32_e32 v1, v6
	s_clause 0x3
	global_load_b128 v[96:99], v36, s[12:13]
	global_load_b128 v[92:95], v36, s[12:13] offset:2560
	global_load_b128 v[104:107], v36, s[12:13] offset:5120
	;; [unrolled: 1-line block ×3, first 2 shown]
	v_add_co_u32 v3, vcc_lo, v10, v3
	s_wait_alu 0xfffd
	v_add_co_ci_u32_e32 v4, vcc_lo, v24, v4, vcc_lo
	v_mov_b32_e32 v0, v8
	s_delay_alu instid0(VALU_DEP_3) | instskip(SKIP_1) | instid1(VALU_DEP_3)
	v_add_co_u32 v11, vcc_lo, v3, s16
	s_wait_alu 0xfffd
	v_add_co_ci_u32_e32 v12, vcc_lo, s17, v4, vcc_lo
	v_mad_co_u64_u32 v[8:9], null, s9, v9, v[1:2]
	s_delay_alu instid0(VALU_DEP_3) | instskip(SKIP_1) | instid1(VALU_DEP_3)
	v_add_co_u32 v13, vcc_lo, v11, s16
	s_wait_alu 0xfffd
	v_add_co_ci_u32_e32 v14, vcc_lo, s17, v12, vcc_lo
	v_mad_co_u64_u32 v[0:1], null, s9, v15, v[0:1]
	s_delay_alu instid0(VALU_DEP_3) | instskip(SKIP_1) | instid1(VALU_DEP_3)
	v_add_co_u32 v15, vcc_lo, v13, s16
	s_wait_alu 0xfffd
	v_add_co_ci_u32_e32 v16, vcc_lo, s17, v14, vcc_lo
	v_mov_b32_e32 v6, v8
	global_load_b128 v[88:91], v36, s[12:13] offset:20480
	v_mov_b32_e32 v8, v0
	v_mad_co_u64_u32 v[17:18], null, 0x1400, s8, v[15:16]
	v_lshlrev_b64_e32 v[0:1], 4, v[5:6]
	global_load_b128 v[3:6], v[3:4], off
	v_lshlrev_b64_e32 v[7:8], 4, v[7:8]
	v_and_b32_e32 v2, 1, v2
	v_add_nc_u32_e32 v18, s2, v18
	v_add_co_u32 v0, vcc_lo, v10, v0
	s_wait_alu 0xfffd
	v_add_co_ci_u32_e32 v1, vcc_lo, v24, v1, vcc_lo
	v_add_co_u32 v19, vcc_lo, v17, s16
	s_wait_alu 0xfffd
	v_add_co_ci_u32_e32 v20, vcc_lo, s17, v18, vcc_lo
	s_delay_alu instid0(VALU_DEP_2) | instskip(SKIP_1) | instid1(VALU_DEP_2)
	v_add_co_u32 v21, vcc_lo, v19, s16
	s_wait_alu 0xfffd
	v_add_co_ci_u32_e32 v22, vcc_lo, s17, v20, vcc_lo
	v_add_co_u32 v23, vcc_lo, v10, v7
	s_wait_alu 0xfffd
	v_add_co_ci_u32_e32 v24, vcc_lo, v24, v8, vcc_lo
	s_clause 0x1
	global_load_b128 v[7:10], v[0:1], off
	global_load_b128 v[40:43], v[11:12], off
	v_mad_co_u64_u32 v[0:1], null, 0x1400, s8, v[21:22]
	s_clause 0x1
	global_load_b128 v[44:47], v[13:14], off
	global_load_b128 v[48:51], v[15:16], off
	s_clause 0x1
	global_load_b128 v[116:119], v36, s[12:13] offset:10240
	global_load_b128 v[108:111], v36, s[12:13] offset:12800
	s_clause 0x1
	global_load_b128 v[52:55], v[23:24], off
	global_load_b128 v[56:59], v[17:18], off
	;; [unrolled: 1-line block ×3, first 2 shown]
	v_cmp_eq_u32_e32 vcc_lo, 1, v2
	v_add_nc_u32_e32 v1, s2, v1
	s_clause 0x1
	global_load_b128 v[120:123], v36, s[12:13] offset:15360
	global_load_b128 v[112:115], v36, s[12:13] offset:17920
	global_load_b128 v[64:67], v[21:22], off
	global_load_b128 v[124:127], v36, s[12:13] offset:23040
	global_load_b128 v[68:71], v[0:1], off
	s_wait_alu 0xfffd
	v_cndmask_b32_e64 v37, 0, 0x6400, vcc_lo
	v_add_co_u32 v253, s2, s12, v36
	s_wait_alu 0xf1ff
	v_add_co_ci_u32_e64 v254, null, s13, 0, s2
	s_delay_alu instid0(VALU_DEP_3)
	v_add_nc_u32_e32 v252, v37, v36
	v_cmp_gt_u16_e32 vcc_lo, 60, v35
	s_wait_loadcnt 0x13
	scratch_store_b128 off, v[96:99], off offset:52 ; 16-byte Folded Spill
	s_wait_loadcnt 0x12
	scratch_store_b128 off, v[92:95], off offset:36 ; 16-byte Folded Spill
	s_wait_loadcnt 0x10
	s_clause 0x1
	scratch_store_b128 off, v[100:103], off offset:68
	scratch_store_b128 off, v[104:107], off offset:84
	s_wait_loadcnt 0xf
	scratch_store_b128 off, v[88:91], off offset:20 ; 16-byte Folded Spill
	s_wait_loadcnt 0xe
	v_mul_f64_e32 v[11:12], v[5:6], v[98:99]
	v_mul_f64_e32 v[13:14], v[3:4], v[98:99]
	s_wait_loadcnt 0xb
	v_mul_f64_e32 v[23:24], v[46:47], v[106:107]
	v_mul_f64_e32 v[25:26], v[44:45], v[106:107]
	;; [unrolled: 1-line block ×6, first 2 shown]
	s_wait_loadcnt 0xa
	v_mul_f64_e32 v[27:28], v[50:51], v[102:103]
	v_mul_f64_e32 v[29:30], v[48:49], v[102:103]
	s_wait_loadcnt 0x7
	v_mul_f64_e32 v[31:32], v[54:55], v[118:119]
	s_wait_loadcnt 0x4
	v_mul_f64_e32 v[76:77], v[62:63], v[122:123]
	v_mul_f64_e32 v[78:79], v[60:61], v[122:123]
	s_wait_loadcnt 0x2
	v_mul_f64_e32 v[80:81], v[66:67], v[114:115]
	;; [unrolled: 3-line block ×3, first 2 shown]
	v_mul_f64_e32 v[86:87], v[68:69], v[126:127]
	v_mul_f64_e32 v[33:34], v[52:53], v[118:119]
	;; [unrolled: 1-line block ×4, first 2 shown]
	v_fma_f64 v[3:4], v[3:4], v[96:97], v[11:12]
	v_fma_f64 v[5:6], v[5:6], v[96:97], -v[13:14]
	s_clause 0x4
	scratch_store_b128 off, v[116:119], off offset:132
	scratch_store_b128 off, v[112:115], off offset:116
	;; [unrolled: 1-line block ×5, first 2 shown]
	s_load_b64 s[10:11], s[0:1], 0x38
	s_load_b128 s[4:7], s[6:7], 0x0
	v_fma_f64 v[44:45], v[44:45], v[104:105], v[23:24]
	v_fma_f64 v[46:47], v[46:47], v[104:105], -v[25:26]
	v_fma_f64 v[7:8], v[7:8], v[88:89], v[15:16]
	v_fma_f64 v[40:41], v[40:41], v[92:93], v[19:20]
	v_fma_f64 v[42:43], v[42:43], v[92:93], -v[21:22]
	v_fma_f64 v[9:10], v[9:10], v[88:89], -v[17:18]
	v_fma_f64 v[48:49], v[48:49], v[100:101], v[27:28]
	v_fma_f64 v[50:51], v[50:51], v[100:101], -v[29:30]
	v_fma_f64 v[52:53], v[52:53], v[116:117], v[31:32]
	v_fma_f64 v[60:61], v[60:61], v[120:121], v[76:77]
	v_fma_f64 v[62:63], v[62:63], v[120:121], -v[78:79]
	v_fma_f64 v[64:65], v[64:65], v[112:113], v[80:81]
	v_fma_f64 v[66:67], v[66:67], v[112:113], -v[82:83]
	;; [unrolled: 2-line block ×3, first 2 shown]
	v_fma_f64 v[54:55], v[54:55], v[116:117], -v[33:34]
	v_fma_f64 v[56:57], v[56:57], v[108:109], v[72:73]
	v_fma_f64 v[58:59], v[58:59], v[108:109], -v[74:75]
	ds_store_b128 v252, v[3:6]
	ds_store_b128 v252, v[40:43] offset:2560
	ds_store_b128 v252, v[44:47] offset:5120
	;; [unrolled: 1-line block ×9, first 2 shown]
	s_and_saveexec_b32 s3, vcc_lo
	s_cbranch_execz .LBB0_3
; %bb.2:
	v_mad_co_u64_u32 v[12:13], null, 0xffffac40, s8, v[0:1]
	s_mul_i32 s2, s9, 0xffffac40
	s_clause 0x1
	global_load_b128 v[0:3], v[253:254], off offset:1600
	global_load_b128 v[4:7], v[253:254], off offset:4160
	s_wait_alu 0xfffe
	s_sub_co_i32 s2, s2, s8
	s_clause 0x3
	global_load_b128 v[8:11], v[253:254], off offset:6720
	global_load_b128 v[40:43], v[253:254], off offset:9280
	;; [unrolled: 1-line block ×4, first 2 shown]
	s_wait_alu 0xfffe
	v_add_nc_u32_e32 v13, s2, v13
	v_add_co_u32 v14, s2, v12, s16
	s_wait_alu 0xf1ff
	s_delay_alu instid0(VALU_DEP_2) | instskip(NEXT) | instid1(VALU_DEP_2)
	v_add_co_ci_u32_e64 v15, s2, s17, v13, s2
	v_add_co_u32 v16, s2, v14, s16
	global_load_b128 v[52:55], v[12:13], off
	s_wait_alu 0xf1ff
	v_add_co_ci_u32_e64 v17, s2, s17, v15, s2
	v_add_co_u32 v18, s2, v16, s16
	global_load_b128 v[56:59], v[14:15], off
	s_wait_alu 0xf1ff
	v_add_co_ci_u32_e64 v19, s2, s17, v17, s2
	v_add_co_u32 v20, s2, v18, s16
	s_wait_alu 0xf1ff
	s_delay_alu instid0(VALU_DEP_2) | instskip(NEXT) | instid1(VALU_DEP_2)
	v_add_co_ci_u32_e64 v21, s2, s17, v19, s2
	v_add_co_u32 v12, s2, v20, s16
	s_wait_alu 0xf1ff
	s_delay_alu instid0(VALU_DEP_2) | instskip(NEXT) | instid1(VALU_DEP_2)
	v_add_co_ci_u32_e64 v13, s2, s17, v21, s2
	v_add_co_u32 v14, s2, v12, s16
	s_wait_alu 0xf1ff
	s_delay_alu instid0(VALU_DEP_2)
	v_add_co_ci_u32_e64 v15, s2, s17, v13, s2
	global_load_b128 v[60:63], v[16:17], off
	global_load_b128 v[64:67], v[18:19], off
	;; [unrolled: 1-line block ×5, first 2 shown]
	v_add_co_u32 v12, s2, v14, s16
	s_wait_alu 0xf1ff
	v_add_co_ci_u32_e64 v13, s2, s17, v15, s2
	global_load_b128 v[80:83], v[253:254], off offset:16960
	v_add_co_u32 v14, s2, v12, s16
	s_wait_alu 0xf1ff
	v_add_co_ci_u32_e64 v15, s2, s17, v13, s2
	global_load_b128 v[84:87], v[12:13], off
	v_add_co_u32 v12, s2, v14, s16
	s_wait_alu 0xf1ff
	v_add_co_ci_u32_e64 v13, s2, s17, v15, s2
	global_load_b128 v[88:91], v[253:254], off offset:19520
	global_load_b128 v[92:95], v[14:15], off
	s_clause 0x1
	global_load_b128 v[96:99], v[253:254], off offset:22080
	global_load_b128 v[100:103], v[253:254], off offset:24640
	global_load_b128 v[104:107], v[12:13], off
	s_wait_loadcnt 0xd
	v_mul_f64_e32 v[12:13], v[54:55], v[2:3]
	v_mul_f64_e32 v[2:3], v[52:53], v[2:3]
	s_wait_loadcnt 0xc
	v_mul_f64_e32 v[14:15], v[58:59], v[6:7]
	v_mul_f64_e32 v[6:7], v[56:57], v[6:7]
	;; [unrolled: 3-line block ×10, first 2 shown]
	v_fma_f64 v[50:51], v[52:53], v[0:1], v[12:13]
	v_fma_f64 v[52:53], v[54:55], v[0:1], -v[2:3]
	v_fma_f64 v[0:1], v[56:57], v[4:5], v[14:15]
	v_fma_f64 v[2:3], v[58:59], v[4:5], -v[6:7]
	;; [unrolled: 2-line block ×10, first 2 shown]
	ds_store_b128 v252, v[50:53] offset:1600
	ds_store_b128 v252, v[0:3] offset:4160
	;; [unrolled: 1-line block ×10, first 2 shown]
.LBB0_3:
	s_wait_alu 0xfffe
	s_or_b32 exec_lo, exec_lo, s3
	global_wb scope:SCOPE_SE
	s_wait_storecnt_dscnt 0x0
	s_wait_kmcnt 0x0
	s_barrier_signal -1
	s_barrier_wait -1
	global_inv scope:SCOPE_SE
	ds_load_b128 v[40:43], v252
	ds_load_b128 v[44:47], v252 offset:2560
	ds_load_b128 v[112:115], v252 offset:5120
	;; [unrolled: 1-line block ×9, first 2 shown]
                                        ; implicit-def: $vgpr72_vgpr73
                                        ; implicit-def: $vgpr76_vgpr77
                                        ; implicit-def: $vgpr80_vgpr81
                                        ; implicit-def: $vgpr84_vgpr85
                                        ; implicit-def: $vgpr88_vgpr89
                                        ; implicit-def: $vgpr68_vgpr69
                                        ; implicit-def: $vgpr64_vgpr65
                                        ; implicit-def: $vgpr60_vgpr61
                                        ; implicit-def: $vgpr52_vgpr53
                                        ; implicit-def: $vgpr48_vgpr49
	s_and_saveexec_b32 s2, vcc_lo
	s_cbranch_execz .LBB0_5
; %bb.4:
	ds_load_b128 v[48:51], v252 offset:1600
	ds_load_b128 v[52:55], v252 offset:4160
	;; [unrolled: 1-line block ×10, first 2 shown]
.LBB0_5:
	s_wait_alu 0xfffe
	s_or_b32 exec_lo, exec_lo, s2
	s_wait_dscnt 0x7
	v_add_f64_e32 v[0:1], v[40:41], v[112:113]
	v_add_f64_e32 v[2:3], v[42:43], v[114:115]
	s_wait_dscnt 0x1
	v_add_f64_e32 v[22:23], v[112:113], v[104:105]
	v_add_f64_e64 v[24:25], v[112:113], -v[104:105]
	v_add_f64_e64 v[28:29], v[104:105], -v[108:109]
	;; [unrolled: 1-line block ×3, first 2 shown]
	v_add_f64_e32 v[4:5], v[116:117], v[108:109]
	v_add_f64_e64 v[14:15], v[116:117], -v[108:109]
	v_add_f64_e64 v[20:21], v[114:115], -v[106:107]
	v_add_f64_e32 v[26:27], v[114:115], v[106:107]
	v_add_f64_e64 v[32:33], v[106:107], -v[110:111]
	v_add_f64_e64 v[34:35], v[110:111], -v[106:107]
	;; [unrolled: 1-line block ×4, first 2 shown]
	v_add_f64_e32 v[6:7], v[118:119], v[110:111]
	s_wait_dscnt 0x0
	v_add_f64_e64 v[124:125], v[98:99], -v[94:95]
	s_mov_b32 s14, 0x134454ff
	s_mov_b32 s15, 0x3fee6f0e
	v_add_f64_e64 v[12:13], v[116:117], -v[112:113]
	v_add_f64_e64 v[16:17], v[114:115], -v[118:119]
	;; [unrolled: 1-line block ×5, first 2 shown]
	v_add_f64_e32 v[122:123], v[96:97], v[92:93]
	v_add_f64_e64 v[126:127], v[96:97], -v[92:93]
	s_mov_b32 s2, 0x4755a5e
	s_mov_b32 s3, 0x3fe2cf23
	;; [unrolled: 1-line block ×3, first 2 shown]
	s_wait_alu 0xfffe
	s_mov_b32 s18, s14
	v_add_f64_e32 v[120:121], v[98:99], v[94:95]
	s_mov_b32 s16, 0x372fe950
	s_mov_b32 s17, 0x3fd3c6ef
	;; [unrolled: 1-line block ×6, first 2 shown]
	s_load_b64 s[0:1], s[0:1], 0x8
	v_add_f64_e32 v[0:1], v[0:1], v[116:117]
	v_add_f64_e32 v[2:3], v[2:3], v[118:119]
	v_add_f64_e64 v[116:117], v[96:97], -v[100:101]
	v_add_f64_e64 v[118:119], v[98:99], -v[102:103]
	v_fma_f64 v[22:23], v[22:23], -0.5, v[40:41]
	v_fma_f64 v[128:129], v[4:5], -0.5, v[40:41]
	;; [unrolled: 1-line block ×3, first 2 shown]
	v_add_f64_e32 v[10:11], v[10:11], v[28:29]
	v_fma_f64 v[130:131], v[6:7], -0.5, v[42:43]
	v_add_f64_e32 v[12:13], v[12:13], v[30:31]
	v_add_f64_e32 v[16:17], v[16:17], v[32:33]
	;; [unrolled: 1-line block ×3, first 2 shown]
	v_fma_f64 v[122:123], v[122:123], -0.5, v[44:45]
	v_fma_f64 v[120:121], v[120:121], -0.5, v[46:47]
	v_add_f64_e32 v[0:1], v[0:1], v[108:109]
	v_add_f64_e32 v[2:3], v[2:3], v[110:111]
	;; [unrolled: 1-line block ×4, first 2 shown]
	v_fma_f64 v[34:35], v[112:113], s[18:19], v[122:123]
	v_fma_f64 v[30:31], v[114:115], s[14:15], v[120:121]
	v_add_f64_e32 v[104:105], v[0:1], v[104:105]
	v_add_f64_e32 v[0:1], v[44:45], v[96:97]
	;; [unrolled: 1-line block ×4, first 2 shown]
	v_fma_f64 v[108:109], v[108:109], -0.5, v[44:45]
	v_fma_f64 v[110:111], v[110:111], -0.5, v[46:47]
	v_fma_f64 v[34:35], v[124:125], s[2:3], v[34:35]
	v_fma_f64 v[30:31], v[126:127], s[8:9], v[30:31]
	v_add_f64_e32 v[0:1], v[0:1], v[100:101]
	v_add_f64_e64 v[100:101], v[100:101], -v[96:97]
	v_add_f64_e32 v[2:3], v[2:3], v[102:103]
	v_add_f64_e64 v[96:97], v[92:93], -v[56:57]
	v_fma_f64 v[28:29], v[124:125], s[14:15], v[108:109]
	v_add_f64_e64 v[102:103], v[102:103], -v[98:99]
	v_add_f64_e64 v[98:99], v[94:95], -v[58:59]
	v_fma_f64 v[32:33], v[126:127], s[18:19], v[110:111]
	v_add_f64_e32 v[0:1], v[0:1], v[56:57]
	v_add_f64_e64 v[56:57], v[56:57], -v[92:93]
	v_add_f64_e32 v[2:3], v[2:3], v[58:59]
	v_add_f64_e64 v[58:59], v[58:59], -v[94:95]
	v_fma_f64 v[28:29], v[112:113], s[2:3], v[28:29]
	v_fma_f64 v[32:33], v[114:115], s[8:9], v[32:33]
	v_add_f64_e32 v[92:93], v[0:1], v[92:93]
	v_add_f64_e32 v[94:95], v[2:3], v[94:95]
	s_delay_alu instid0(VALU_DEP_2) | instskip(SKIP_2) | instid1(VALU_DEP_4)
	v_add_f64_e32 v[0:1], v[104:105], v[92:93]
	v_add_f64_e64 v[4:5], v[104:105], -v[92:93]
	v_add_f64_e32 v[104:105], v[116:117], v[96:97]
	v_add_f64_e32 v[2:3], v[106:107], v[94:95]
	v_add_f64_e64 v[6:7], v[106:107], -v[94:95]
	v_add_f64_e32 v[106:107], v[118:119], v[98:99]
	s_delay_alu instid0(VALU_DEP_4) | instskip(NEXT) | instid1(VALU_DEP_2)
	v_fma_f64 v[28:29], v[104:105], s[16:17], v[28:29]
	v_fma_f64 v[32:33], v[106:107], s[16:17], v[32:33]
	s_delay_alu instid0(VALU_DEP_2) | instskip(SKIP_1) | instid1(VALU_DEP_2)
	v_mul_f64_e32 v[40:41], s[20:21], v[28:29]
	v_mul_f64_e32 v[28:29], s[8:9], v[28:29]
	v_fma_f64 v[44:45], v[32:33], s[2:3], v[40:41]
	s_delay_alu instid0(VALU_DEP_2) | instskip(SKIP_2) | instid1(VALU_DEP_2)
	v_fma_f64 v[28:29], v[32:33], s[20:21], v[28:29]
	v_fma_f64 v[32:33], v[20:21], s[14:15], v[128:129]
	;; [unrolled: 1-line block ×4, first 2 shown]
	s_delay_alu instid0(VALU_DEP_2) | instskip(NEXT) | instid1(VALU_DEP_2)
	v_fma_f64 v[40:41], v[14:15], s[8:9], v[40:41]
	v_fma_f64 v[32:33], v[10:11], s[16:17], v[32:33]
	s_delay_alu instid0(VALU_DEP_2) | instskip(NEXT) | instid1(VALU_DEP_2)
	v_fma_f64 v[46:47], v[16:17], s[16:17], v[40:41]
	v_add_f64_e32 v[40:41], v[32:33], v[44:45]
	v_add_f64_e64 v[44:45], v[32:33], -v[44:45]
	v_add_f64_e32 v[32:33], v[102:103], v[58:59]
	s_delay_alu instid0(VALU_DEP_4) | instskip(SKIP_2) | instid1(VALU_DEP_4)
	v_add_f64_e32 v[42:43], v[46:47], v[28:29]
	v_add_f64_e64 v[46:47], v[46:47], -v[28:29]
	v_add_f64_e32 v[28:29], v[100:101], v[56:57]
	v_fma_f64 v[30:31], v[32:33], s[16:17], v[30:31]
	s_delay_alu instid0(VALU_DEP_2) | instskip(NEXT) | instid1(VALU_DEP_2)
	v_fma_f64 v[34:35], v[28:29], s[16:17], v[34:35]
	v_mul_f64_e32 v[56:57], s[14:15], v[30:31]
	s_delay_alu instid0(VALU_DEP_1) | instskip(SKIP_2) | instid1(VALU_DEP_2)
	v_fma_f64 v[92:93], v[34:35], s[16:17], v[56:57]
	v_fma_f64 v[56:57], v[14:15], s[14:15], v[26:27]
	v_mul_f64_e32 v[34:35], s[18:19], v[34:35]
	v_fma_f64 v[56:57], v[24:25], s[8:9], v[56:57]
	s_delay_alu instid0(VALU_DEP_2) | instskip(SKIP_2) | instid1(VALU_DEP_4)
	v_fma_f64 v[30:31], v[30:31], s[16:17], v[34:35]
	v_fma_f64 v[34:35], v[8:9], s[18:19], v[22:23]
	;; [unrolled: 1-line block ×4, first 2 shown]
	s_delay_alu instid0(VALU_DEP_3) | instskip(NEXT) | instid1(VALU_DEP_3)
	v_fma_f64 v[34:35], v[20:21], s[2:3], v[34:35]
	v_fma_f64 v[22:23], v[20:21], s[8:9], v[22:23]
	v_fma_f64 v[20:21], v[20:21], s[18:19], v[128:129]
	s_delay_alu instid0(VALU_DEP_4)
	v_add_f64_e32 v[58:59], v[94:95], v[30:31]
	v_add_f64_e64 v[94:95], v[94:95], -v[30:31]
	v_fma_f64 v[30:31], v[112:113], s[14:15], v[122:123]
	v_fma_f64 v[34:35], v[12:13], s[16:17], v[34:35]
	;; [unrolled: 1-line block ×6, first 2 shown]
	v_add_f64_e32 v[56:57], v[34:35], v[92:93]
	v_add_f64_e64 v[92:93], v[34:35], -v[92:93]
	v_fma_f64 v[22:23], v[24:25], s[2:3], v[22:23]
	scratch_load_b32 v35, off, off          ; 4-byte Folded Reload
	v_fma_f64 v[8:9], v[10:11], s[16:17], v[8:9]
	global_wb scope:SCOPE_SE
	s_wait_loadcnt 0x0
	s_wait_kmcnt 0x0
	s_barrier_signal -1
	s_barrier_wait -1
	global_inv scope:SCOPE_SE
	v_fma_f64 v[28:29], v[28:29], s[16:17], v[30:31]
	v_fma_f64 v[30:31], v[114:115], s[18:19], v[120:121]
	;; [unrolled: 1-line block ×3, first 2 shown]
	s_delay_alu instid0(VALU_DEP_3) | instskip(NEXT) | instid1(VALU_DEP_3)
	v_mul_f64_e32 v[22:23], s[16:17], v[28:29]
	v_fma_f64 v[30:31], v[126:127], s[2:3], v[30:31]
	s_delay_alu instid0(VALU_DEP_1) | instskip(SKIP_1) | instid1(VALU_DEP_2)
	v_fma_f64 v[30:31], v[32:33], s[16:17], v[30:31]
	v_add_f64_e64 v[33:34], v[64:65], -v[88:89]
	v_mul_f64_e32 v[26:27], s[16:17], v[30:31]
	v_fma_f64 v[22:23], v[30:31], s[14:15], -v[22:23]
	s_delay_alu instid0(VALU_DEP_2) | instskip(NEXT) | instid1(VALU_DEP_2)
	v_fma_f64 v[26:27], v[28:29], s[18:19], -v[26:27]
	v_add_f64_e32 v[96:97], v[12:13], v[22:23]
	v_add_f64_e64 v[100:101], v[12:13], -v[22:23]
	v_fma_f64 v[12:13], v[124:125], s[18:19], v[108:109]
	v_fma_f64 v[22:23], v[24:25], s[14:15], v[130:131]
	v_add_f64_e64 v[29:30], v[72:73], -v[80:81]
	v_add_f64_e32 v[98:99], v[18:19], v[26:27]
	v_add_f64_e64 v[102:103], v[18:19], -v[26:27]
	v_fma_f64 v[18:19], v[126:127], s[14:15], v[110:111]
	v_fma_f64 v[12:13], v[112:113], s[8:9], v[12:13]
	;; [unrolled: 1-line block ×3, first 2 shown]
	v_add_f64_e64 v[21:22], v[66:67], -v[90:91]
	v_add_f64_e64 v[25:26], v[74:75], -v[82:83]
	v_fma_f64 v[18:19], v[114:115], s[2:3], v[18:19]
	v_fma_f64 v[12:13], v[104:105], s[16:17], v[12:13]
	;; [unrolled: 1-line block ×3, first 2 shown]
	s_delay_alu instid0(VALU_DEP_3) | instskip(NEXT) | instid1(VALU_DEP_3)
	v_fma_f64 v[18:19], v[106:107], s[16:17], v[18:19]
	v_mul_f64_e32 v[14:15], s[20:21], v[12:13]
	s_delay_alu instid0(VALU_DEP_2) | instskip(NEXT) | instid1(VALU_DEP_2)
	v_mul_f64_e32 v[16:17], s[20:21], v[18:19]
	v_fma_f64 v[14:15], v[18:19], s[2:3], -v[14:15]
	v_add_f64_e32 v[19:20], v[72:73], v[80:81]
	s_delay_alu instid0(VALU_DEP_3) | instskip(NEXT) | instid1(VALU_DEP_3)
	v_fma_f64 v[12:13], v[12:13], s[8:9], -v[16:17]
	v_add_f64_e32 v[104:105], v[8:9], v[14:15]
	v_add_f64_e64 v[108:109], v[8:9], -v[14:15]
	v_mul_lo_u16 v8, v35, 10
	v_add_f64_e64 v[15:16], v[86:87], -v[78:79]
	v_add_f64_e64 v[17:18], v[78:79], -v[86:87]
	v_fma_f64 v[19:20], v[19:20], -0.5, v[52:53]
	s_delay_alu instid0(VALU_DEP_4) | instskip(NEXT) | instid1(VALU_DEP_1)
	v_and_b32_e32 v8, 0xffff, v8
	v_lshl_add_u32 v8, v8, 4, v37
	v_add_f64_e32 v[106:107], v[10:11], v[12:13]
	v_add_f64_e64 v[110:111], v[10:11], -v[12:13]
	v_add_f64_e64 v[9:10], v[82:83], -v[90:91]
	;; [unrolled: 1-line block ×4, first 2 shown]
	ds_store_b128 v8, v[0:3]
	ds_store_b128 v8, v[4:7] offset:80
	ds_store_b128 v8, v[40:43] offset:16
	;; [unrolled: 1-line block ×9, first 2 shown]
	v_add_f64_e64 v[0:1], v[64:65], -v[72:73]
	v_add_f64_e64 v[2:3], v[88:89], -v[80:81]
	;; [unrolled: 1-line block ×4, first 2 shown]
	v_fma_f64 v[23:24], v[21:22], s[18:19], v[19:20]
	v_fma_f64 v[19:20], v[21:22], s[14:15], v[19:20]
	v_add_f64_e64 v[42:43], v[62:63], -v[86:87]
	v_add_f64_e64 v[46:47], v[70:71], -v[78:79]
	v_add_f64_e64 v[58:59], v[60:61], -v[84:85]
	v_add_f64_e64 v[94:95], v[68:69], -v[76:77]
	v_add_f64_e32 v[0:1], v[2:3], v[0:1]
	v_add_f64_e64 v[2:3], v[72:73], -v[64:65]
	v_fma_f64 v[23:24], v[25:26], s[8:9], v[23:24]
	v_fma_f64 v[19:20], v[25:26], s[2:3], v[19:20]
	s_delay_alu instid0(VALU_DEP_3) | instskip(SKIP_1) | instid1(VALU_DEP_4)
	v_add_f64_e32 v[2:3], v[4:5], v[2:3]
	v_add_f64_e64 v[4:5], v[66:67], -v[74:75]
	v_fma_f64 v[23:24], v[0:1], s[16:17], v[23:24]
	s_delay_alu instid0(VALU_DEP_4) | instskip(NEXT) | instid1(VALU_DEP_3)
	v_fma_f64 v[19:20], v[0:1], s[16:17], v[19:20]
	v_add_f64_e32 v[4:5], v[6:7], v[4:5]
	v_add_f64_e64 v[6:7], v[74:75], -v[66:67]
	s_delay_alu instid0(VALU_DEP_1) | instskip(SKIP_1) | instid1(VALU_DEP_1)
	v_add_f64_e32 v[6:7], v[9:10], v[6:7]
	v_add_f64_e64 v[9:10], v[60:61], -v[68:69]
	v_add_f64_e32 v[9:10], v[11:12], v[9:10]
	v_add_f64_e64 v[11:12], v[68:69], -v[60:61]
	s_delay_alu instid0(VALU_DEP_1) | instskip(SKIP_1) | instid1(VALU_DEP_1)
	v_add_f64_e32 v[11:12], v[13:14], v[11:12]
	v_add_f64_e64 v[13:14], v[62:63], -v[70:71]
	v_add_f64_e32 v[13:14], v[15:16], v[13:14]
	v_add_f64_e64 v[15:16], v[70:71], -v[62:63]
	s_delay_alu instid0(VALU_DEP_1) | instskip(SKIP_1) | instid1(VALU_DEP_1)
	v_add_f64_e32 v[15:16], v[17:18], v[15:16]
	v_add_f64_e32 v[17:18], v[88:89], v[64:65]
	v_fma_f64 v[17:18], v[17:18], -0.5, v[52:53]
	s_delay_alu instid0(VALU_DEP_1) | instskip(SKIP_1) | instid1(VALU_DEP_2)
	v_fma_f64 v[27:28], v[25:26], s[14:15], v[17:18]
	v_fma_f64 v[17:18], v[25:26], s[18:19], v[17:18]
	;; [unrolled: 1-line block ×3, first 2 shown]
	s_delay_alu instid0(VALU_DEP_2) | instskip(SKIP_2) | instid1(VALU_DEP_4)
	v_fma_f64 v[17:18], v[21:22], s[2:3], v[17:18]
	v_add_f64_e32 v[21:22], v[74:75], v[82:83]
	v_add_f64_e32 v[27:28], v[90:91], v[66:67]
	v_fma_f64 v[25:26], v[2:3], s[16:17], v[25:26]
	s_delay_alu instid0(VALU_DEP_4) | instskip(NEXT) | instid1(VALU_DEP_4)
	v_fma_f64 v[17:18], v[2:3], s[16:17], v[17:18]
	v_fma_f64 v[21:22], v[21:22], -0.5, v[54:55]
	s_delay_alu instid0(VALU_DEP_4) | instskip(NEXT) | instid1(VALU_DEP_2)
	v_fma_f64 v[27:28], v[27:28], -0.5, v[54:55]
	v_fma_f64 v[40:41], v[33:34], s[18:19], v[21:22]
	s_delay_alu instid0(VALU_DEP_2) | instskip(SKIP_2) | instid1(VALU_DEP_3)
	v_fma_f64 v[31:32], v[29:30], s[14:15], v[27:28]
	v_fma_f64 v[27:28], v[29:30], s[18:19], v[27:28]
	;; [unrolled: 1-line block ×4, first 2 shown]
	s_delay_alu instid0(VALU_DEP_3) | instskip(SKIP_1) | instid1(VALU_DEP_4)
	v_fma_f64 v[27:28], v[33:34], s[2:3], v[27:28]
	v_fma_f64 v[33:34], v[29:30], s[8:9], v[40:41]
	v_fma_f64 v[21:22], v[29:30], s[2:3], v[21:22]
	v_add_f64_e32 v[29:30], v[76:77], v[68:69]
	v_add_f64_e32 v[40:41], v[84:85], v[60:61]
	v_fma_f64 v[31:32], v[6:7], s[16:17], v[31:32]
	v_fma_f64 v[27:28], v[6:7], s[16:17], v[27:28]
	;; [unrolled: 1-line block ×4, first 2 shown]
	v_fma_f64 v[29:30], v[29:30], -0.5, v[48:49]
	v_fma_f64 v[40:41], v[40:41], -0.5, v[48:49]
	s_delay_alu instid0(VALU_DEP_4) | instskip(NEXT) | instid1(VALU_DEP_3)
	v_mul_f64_e32 v[2:3], s[2:3], v[33:34]
	v_fma_f64 v[44:45], v[42:43], s[14:15], v[29:30]
	v_fma_f64 v[29:30], v[42:43], s[18:19], v[29:30]
	s_delay_alu instid0(VALU_DEP_4)
	v_fma_f64 v[56:57], v[46:47], s[18:19], v[40:41]
	v_fma_f64 v[40:41], v[46:47], s[14:15], v[40:41]
	;; [unrolled: 1-line block ×7, first 2 shown]
	v_add_f64_e32 v[42:43], v[78:79], v[70:71]
	v_add_f64_e32 v[56:57], v[86:87], v[62:63]
	v_fma_f64 v[0:1], v[9:10], s[16:17], v[44:45]
	v_fma_f64 v[4:5], v[11:12], s[16:17], v[46:47]
	;; [unrolled: 1-line block ×3, first 2 shown]
	v_fma_f64 v[42:43], v[42:43], -0.5, v[50:51]
	v_fma_f64 v[56:57], v[56:57], -0.5, v[50:51]
	s_delay_alu instid0(VALU_DEP_2) | instskip(SKIP_1) | instid1(VALU_DEP_3)
	v_fma_f64 v[92:93], v[58:59], s[18:19], v[42:43]
	v_fma_f64 v[42:43], v[58:59], s[14:15], v[42:43]
	;; [unrolled: 1-line block ×4, first 2 shown]
	s_delay_alu instid0(VALU_DEP_4)
	v_fma_f64 v[98:99], v[94:95], s[8:9], v[92:93]
	v_fma_f64 v[92:93], v[9:10], s[16:17], v[29:30]
	v_mul_f64_e32 v[9:10], s[8:9], v[19:20]
	v_fma_f64 v[42:43], v[94:95], s[2:3], v[42:43]
	v_fma_f64 v[94:95], v[58:59], s[8:9], v[96:97]
	;; [unrolled: 1-line block ×5, first 2 shown]
	v_mul_f64_e32 v[9:10], s[14:15], v[31:32]
	v_fma_f64 v[100:101], v[15:16], s[16:17], v[94:95]
	v_fma_f64 v[106:107], v[13:14], s[16:17], v[42:43]
	;; [unrolled: 1-line block ×3, first 2 shown]
	v_add_f64_e64 v[56:57], v[0:1], -v[2:3]
	v_add_f64_e64 v[58:59], v[96:97], -v[102:103]
	v_fma_f64 v[94:95], v[17:18], s[16:17], v[9:10]
	v_mul_f64_e32 v[9:10], s[18:19], v[17:18]
	s_delay_alu instid0(VALU_DEP_2) | instskip(NEXT) | instid1(VALU_DEP_2)
	v_add_f64_e64 v[40:41], v[4:5], -v[94:95]
	v_fma_f64 v[110:111], v[31:32], s[16:17], v[9:10]
	v_mul_f64_e32 v[9:10], s[16:17], v[25:26]
	s_delay_alu instid0(VALU_DEP_2) | instskip(NEXT) | instid1(VALU_DEP_2)
	v_add_f64_e64 v[42:43], v[100:101], -v[110:111]
	v_fma_f64 v[98:99], v[27:28], s[14:15], -v[9:10]
	v_mul_f64_e32 v[9:10], s[16:17], v[27:28]
	s_delay_alu instid0(VALU_DEP_2) | instskip(NEXT) | instid1(VALU_DEP_2)
	v_add_f64_e64 v[172:173], v[6:7], -v[98:99]
	v_fma_f64 v[112:113], v[25:26], s[18:19], -v[9:10]
	;; [unrolled: 4-line block ×4, first 2 shown]
	v_add_co_u32 v9, null, 0x64, v35
	s_delay_alu instid0(VALU_DEP_1)
	v_mul_u32_u24_e32 v10, 10, v9
	scratch_store_b32 off, v10, off offset:296 ; 4-byte Folded Spill
	v_add_f64_e64 v[46:47], v[106:107], -v[114:115]
	s_and_saveexec_b32 s2, vcc_lo
	s_cbranch_execz .LBB0_7
; %bb.6:
	v_add_f64_e32 v[10:11], v[62:63], v[50:51]
	v_add_f64_e32 v[12:13], v[66:67], v[54:55]
	;; [unrolled: 1-line block ×16, first 2 shown]
	s_delay_alu instid0(VALU_DEP_4) | instskip(NEXT) | instid1(VALU_DEP_4)
	v_add_f64_e32 v[10:11], v[78:79], v[10:11]
	v_add_f64_e32 v[12:13], v[82:83], v[12:13]
	s_delay_alu instid0(VALU_DEP_4) | instskip(NEXT) | instid1(VALU_DEP_4)
	v_add_f64_e32 v[14:15], v[76:77], v[14:15]
	v_add_f64_e32 v[16:17], v[80:81], v[16:17]
	;; [unrolled: 3-line block ×4, first 2 shown]
	s_delay_alu instid0(VALU_DEP_3) | instskip(SKIP_1) | instid1(VALU_DEP_3)
	v_add_f64_e32 v[6:7], v[12:13], v[10:11]
	v_add_f64_e64 v[2:3], v[10:11], -v[12:13]
	v_add_f64_e32 v[4:5], v[16:17], v[14:15]
	v_add_f64_e64 v[0:1], v[14:15], -v[16:17]
	v_mul_u32_u24_e32 v10, 10, v9
	s_delay_alu instid0(VALU_DEP_1)
	v_lshl_add_u32 v10, v10, 4, v37
	ds_store_b128 v10, v[56:59] offset:96
	ds_store_b128 v10, v[40:43] offset:112
	;; [unrolled: 1-line block ×4, first 2 shown]
	ds_store_b128 v10, v[4:7]
	ds_store_b128 v10, v[64:67] offset:16
	ds_store_b128 v10, v[48:51] offset:64
	;; [unrolled: 1-line block ×5, first 2 shown]
.LBB0_7:
	s_wait_alu 0xfffe
	s_or_b32 exec_lo, exec_lo, s2
	scratch_load_b32 v2, off, off           ; 4-byte Folded Reload
	global_wb scope:SCOPE_SE
	s_wait_storecnt 0x0
	s_wait_loadcnt_dscnt 0x0
	s_barrier_signal -1
	s_barrier_wait -1
	global_inv scope:SCOPE_SE
	s_mov_b32 s2, 0x667f3bcd
	s_mov_b32 s3, 0xbfe6a09e
	s_mov_b32 s9, 0x3fe6a09e
	s_wait_alu 0xfffe
	s_mov_b32 s8, s2
	s_mov_b32 s14, 0xcf328d46
	s_mov_b32 s15, 0xbfed906b
	s_mov_b32 s21, 0x3fed906b
	s_wait_alu 0xfffe
	s_mov_b32 s20, s14
	s_mov_b32 s16, 0xa6aea964
	s_mov_b32 s17, 0xbfd87de2
	s_mov_b32 s19, 0x3fd87de2
	s_wait_alu 0xfffe
	s_mov_b32 s18, s16
	v_and_b32_e32 v0, 0xff, v2
	s_delay_alu instid0(VALU_DEP_1) | instskip(NEXT) | instid1(VALU_DEP_1)
	v_mul_lo_u16 v0, 0xcd, v0
	v_lshrrev_b16 v0, 11, v0
	s_delay_alu instid0(VALU_DEP_1) | instskip(SKIP_1) | instid1(VALU_DEP_2)
	v_mul_lo_u16 v1, v0, 10
	v_and_b32_e32 v0, 0xffff, v0
	v_sub_nc_u16 v1, v2, v1
	s_delay_alu instid0(VALU_DEP_2) | instskip(NEXT) | instid1(VALU_DEP_2)
	v_mul_u32_u24_e32 v0, 0xa0, v0
	v_and_b32_e32 v1, 0xff, v1
	s_delay_alu instid0(VALU_DEP_1) | instskip(NEXT) | instid1(VALU_DEP_3)
	v_mad_co_u64_u32 v[2:3], null, 0xf0, v1, s[0:1]
	v_or_b32_e32 v0, v0, v1
	s_clause 0xe
	global_load_b128 v[88:91], v[2:3], off
	global_load_b128 v[84:87], v[2:3], off offset:16
	global_load_b128 v[80:83], v[2:3], off offset:32
	;; [unrolled: 1-line block ×14, first 2 shown]
	ds_load_b128 v[2:5], v252 offset:1600
	ds_load_b128 v[48:51], v252 offset:3200
	;; [unrolled: 1-line block ×15, first 2 shown]
	v_lshl_add_u32 v255, v0, 4, v37
	scratch_store_b32 off, v37, off offset:180 ; 4-byte Folded Spill
	s_wait_loadcnt_dscnt 0xe0e
	v_mul_f64_e32 v[6:7], v[4:5], v[90:91]
	v_mul_f64_e32 v[10:11], v[2:3], v[90:91]
	s_wait_loadcnt_dscnt 0xd0d
	v_mul_f64_e32 v[12:13], v[50:51], v[86:87]
	v_mul_f64_e32 v[14:15], v[48:49], v[86:87]
	;; [unrolled: 3-line block ×9, first 2 shown]
	s_wait_loadcnt 0x5
	v_mul_f64_e32 v[180:181], v[146:147], v[114:115]
	v_mul_f64_e32 v[182:183], v[144:145], v[114:115]
	s_wait_loadcnt_dscnt 0x401
	v_mul_f64_e32 v[184:185], v[162:163], v[134:135]
	v_mul_f64_e32 v[186:187], v[160:161], v[134:135]
	s_wait_loadcnt 0x3
	v_mul_f64_e32 v[188:189], v[142:143], v[126:127]
	v_mul_f64_e32 v[190:191], v[140:141], v[126:127]
	s_wait_loadcnt 0x2
	;; [unrolled: 3-line block ×3, first 2 shown]
	v_mul_f64_e32 v[196:197], v[150:151], v[122:123]
	v_mul_f64_e32 v[198:199], v[148:149], v[122:123]
	s_wait_loadcnt_dscnt 0x0
	v_mul_f64_e32 v[200:201], v[164:165], v[118:119]
	v_mul_f64_e32 v[202:203], v[166:167], v[118:119]
	v_fma_f64 v[6:7], v[2:3], v[88:89], -v[6:7]
	v_fma_f64 v[10:11], v[4:5], v[88:89], v[10:11]
	v_fma_f64 v[12:13], v[48:49], v[84:85], -v[12:13]
	v_fma_f64 v[14:15], v[50:51], v[84:85], v[14:15]
	;; [unrolled: 2-line block ×14, first 2 shown]
	v_fma_f64 v[140:141], v[166:167], v[116:117], v[200:201]
	v_fma_f64 v[142:143], v[164:165], v[116:117], -v[202:203]
	ds_load_b128 v[2:5], v252
	global_wb scope:SCOPE_SE
	s_wait_storecnt_dscnt 0x0
	s_barrier_signal -1
	s_barrier_wait -1
	global_inv scope:SCOPE_SE
	v_add_f64_e64 v[48:49], v[2:3], -v[48:49]
	v_add_f64_e64 v[50:51], v[4:5], -v[50:51]
	;; [unrolled: 1-line block ×16, first 2 shown]
	v_fma_f64 v[2:3], v[2:3], 2.0, -v[48:49]
	v_fma_f64 v[4:5], v[4:5], 2.0, -v[50:51]
	v_add_f64_e32 v[146:147], v[50:51], v[52:53]
	v_add_f64_e64 v[144:145], v[48:49], -v[54:55]
	v_fma_f64 v[20:21], v[20:21], 2.0, -v[52:53]
	v_fma_f64 v[22:23], v[22:23], 2.0, -v[54:55]
	v_add_f64_e32 v[150:151], v[62:63], v[64:65]
	v_add_f64_e64 v[148:149], v[60:61], -v[66:67]
	;; [unrolled: 4-line block ×3, first 2 shown]
	v_fma_f64 v[28:29], v[28:29], 2.0, -v[64:65]
	v_fma_f64 v[30:31], v[30:31], 2.0, -v[66:67]
	v_add_f64_e64 v[156:157], v[136:137], -v[140:141]
	v_add_f64_e32 v[158:159], v[138:139], v[142:143]
	v_fma_f64 v[6:7], v[6:7], 2.0, -v[68:69]
	v_fma_f64 v[10:11], v[10:11], 2.0, -v[70:71]
	;; [unrolled: 1-line block ×10, first 2 shown]
	v_add_f64_e64 v[20:21], v[2:3], -v[20:21]
	v_add_f64_e64 v[22:23], v[4:5], -v[22:23]
	v_fma_f64 v[54:55], v[62:63], 2.0, -v[150:151]
	v_fma_f64 v[52:53], v[60:61], 2.0, -v[148:149]
	;; [unrolled: 1-line block ×4, first 2 shown]
	v_add_f64_e64 v[28:29], v[12:13], -v[28:29]
	v_add_f64_e64 v[30:31], v[14:15], -v[30:31]
	v_fma_f64 v[64:65], v[136:137], 2.0, -v[156:157]
	v_fma_f64 v[66:67], v[138:139], 2.0, -v[158:159]
	v_fma_f64 v[68:69], v[148:149], s[8:9], v[144:145]
	v_fma_f64 v[70:71], v[150:151], s[8:9], v[146:147]
	v_add_f64_e64 v[24:25], v[6:7], -v[24:25]
	v_add_f64_e64 v[26:27], v[10:11], -v[26:27]
	v_fma_f64 v[72:73], v[156:157], s[8:9], v[152:153]
	v_fma_f64 v[74:75], v[158:159], s[8:9], v[154:155]
	v_add_f64_e64 v[34:35], v[18:19], -v[34:35]
	v_add_f64_e64 v[32:33], v[16:17], -v[32:33]
	v_fma_f64 v[2:3], v[2:3], 2.0, -v[20:21]
	v_fma_f64 v[4:5], v[4:5], 2.0, -v[22:23]
	v_fma_f64 v[138:139], v[54:55], s[2:3], v[50:51]
	v_fma_f64 v[136:137], v[52:53], s[2:3], v[48:49]
	v_fma_f64 v[12:13], v[12:13], 2.0, -v[28:29]
	v_fma_f64 v[14:15], v[14:15], 2.0, -v[30:31]
	v_fma_f64 v[140:141], v[64:65], s[2:3], v[60:61]
	v_fma_f64 v[142:143], v[66:67], s[2:3], v[62:63]
	v_add_f64_e64 v[30:31], v[20:21], -v[30:31]
	v_add_f64_e32 v[28:29], v[22:23], v[28:29]
	v_fma_f64 v[150:151], v[150:151], s[2:3], v[68:69]
	v_fma_f64 v[148:149], v[148:149], s[8:9], v[70:71]
	;; [unrolled: 1-line block ×4, first 2 shown]
	v_add_f64_e64 v[68:69], v[24:25], -v[34:35]
	v_add_f64_e32 v[70:71], v[26:27], v[32:33]
	v_fma_f64 v[6:7], v[6:7], 2.0, -v[24:25]
	v_fma_f64 v[10:11], v[10:11], 2.0, -v[26:27]
	v_fma_f64 v[16:17], v[16:17], 2.0, -v[32:33]
	v_fma_f64 v[18:19], v[18:19], 2.0, -v[34:35]
	v_fma_f64 v[34:35], v[52:53], s[8:9], v[138:139]
	v_fma_f64 v[32:33], v[54:55], s[2:3], v[136:137]
	v_add_f64_e64 v[12:13], v[2:3], -v[12:13]
	v_add_f64_e64 v[14:15], v[4:5], -v[14:15]
	v_fma_f64 v[66:67], v[66:67], s[2:3], v[140:141]
	v_fma_f64 v[64:65], v[64:65], s[8:9], v[142:143]
	v_fma_f64 v[20:21], v[20:21], 2.0, -v[30:31]
	v_fma_f64 v[22:23], v[22:23], 2.0, -v[28:29]
	;; [unrolled: 1-line block ×8, first 2 shown]
	v_fma_f64 v[52:53], v[158:159], s[20:21], v[150:151]
	v_fma_f64 v[54:55], v[72:73], s[20:21], v[148:149]
	v_add_f64_e64 v[16:17], v[6:7], -v[16:17]
	v_add_f64_e64 v[18:19], v[10:11], -v[18:19]
	v_fma_f64 v[164:165], v[50:51], 2.0, -v[34:35]
	v_fma_f64 v[162:163], v[48:49], 2.0, -v[32:33]
	v_fma_f64 v[48:49], v[68:69], s[8:9], v[30:31]
	v_fma_f64 v[50:51], v[70:71], s[8:9], v[28:29]
	v_fma_f64 v[166:167], v[2:3], 2.0, -v[12:13]
	v_fma_f64 v[168:169], v[4:5], 2.0, -v[14:15]
	;; [unrolled: 1-line block ×4, first 2 shown]
	s_wait_alu 0xfffe
	v_fma_f64 v[144:145], v[66:67], s[18:19], v[32:33]
	v_fma_f64 v[146:147], v[64:65], s[18:19], v[34:35]
	;; [unrolled: 1-line block ×8, first 2 shown]
	v_fma_f64 v[6:7], v[6:7], 2.0, -v[16:17]
	v_fma_f64 v[10:11], v[10:11], 2.0, -v[18:19]
	v_add_f64_e64 v[52:53], v[12:13], -v[18:19]
	v_add_f64_e32 v[54:55], v[14:15], v[16:17]
	v_fma_f64 v[184:185], v[70:71], s[2:3], v[48:49]
	v_fma_f64 v[186:187], v[68:69], s[8:9], v[50:51]
	;; [unrolled: 1-line block ×10, first 2 shown]
	v_fma_f64 v[136:137], v[150:151], 2.0, -v[72:73]
	v_fma_f64 v[138:139], v[148:149], 2.0, -v[74:75]
	v_add_f64_e64 v[2:3], v[166:167], -v[6:7]
	v_add_f64_e64 v[4:5], v[168:169], -v[10:11]
	v_fma_f64 v[142:143], v[14:15], 2.0, -v[54:55]
	v_fma_f64 v[68:69], v[30:31], 2.0, -v[184:185]
	;; [unrolled: 1-line block ×3, first 2 shown]
	v_fma_f64 v[60:61], v[60:61], s[16:17], v[152:153]
	v_fma_f64 v[62:63], v[140:141], s[18:19], v[154:155]
	v_fma_f64 v[140:141], v[12:13], 2.0, -v[52:53]
	v_fma_f64 v[152:153], v[32:33], 2.0, -v[64:65]
	v_fma_f64 v[154:155], v[34:35], 2.0, -v[66:67]
	v_fma_f64 v[148:149], v[156:157], 2.0, -v[48:49]
	v_fma_f64 v[150:151], v[160:161], 2.0, -v[50:51]
	v_fma_f64 v[144:145], v[20:21], 2.0, -v[176:177]
	v_fma_f64 v[146:147], v[22:23], 2.0, -v[178:179]
	v_fma_f64 v[156:157], v[166:167], 2.0, -v[2:3]
	v_fma_f64 v[158:159], v[168:169], 2.0, -v[4:5]
	v_fma_f64 v[160:161], v[162:163], 2.0, -v[60:61]
	v_fma_f64 v[162:163], v[164:165], 2.0, -v[62:63]
	ds_store_b128 v255, v[184:187] offset:2240
	ds_store_b128 v255, v[72:75] offset:2400
	;; [unrolled: 1-line block ×14, first 2 shown]
	ds_store_b128 v255, v[156:159]
	ds_store_b128 v255, v[160:163] offset:160
	global_wb scope:SCOPE_SE
	s_wait_dscnt 0x0
	s_barrier_signal -1
	s_barrier_wait -1
	global_inv scope:SCOPE_SE
	ds_load_b128 v[180:183], v252
	ds_load_b128 v[60:63], v252 offset:2560
	ds_load_b128 v[144:147], v252 offset:5120
	ds_load_b128 v[160:163], v252 offset:7680
	ds_load_b128 v[148:151], v252 offset:10240
	ds_load_b128 v[164:167], v252 offset:12800
	ds_load_b128 v[152:155], v252 offset:15360
	ds_load_b128 v[156:159], v252 offset:17920
	ds_load_b128 v[68:71], v252 offset:20480
	ds_load_b128 v[140:143], v252 offset:23040
	s_and_saveexec_b32 s2, vcc_lo
	s_cbranch_execz .LBB0_9
; %bb.8:
	ds_load_b128 v[176:179], v252 offset:1600
	ds_load_b128 v[48:51], v252 offset:4160
	;; [unrolled: 1-line block ×10, first 2 shown]
.LBB0_9:
	s_wait_alu 0xfffe
	s_or_b32 exec_lo, exec_lo, s2
	scratch_load_b32 v10, off, off          ; 4-byte Folded Reload
	s_mov_b32 s14, 0x134454ff
	s_mov_b32 s15, 0x3fee6f0e
	;; [unrolled: 1-line block ×3, first 2 shown]
	s_wait_alu 0xfffe
	s_mov_b32 s16, s14
	s_mov_b32 s3, 0xbfe2cf23
	;; [unrolled: 1-line block ×6, first 2 shown]
	s_wait_loadcnt 0x0
	v_mad_co_u64_u32 v[2:3], null, 0x90, v10, s[0:1]
	v_subrev_nc_u32_e32 v10, 60, v10
	s_delay_alu instid0(VALU_DEP_1)
	v_cndmask_b32_e32 v9, v10, v9, vcc_lo
	s_clause 0x1
	global_load_b128 v[136:139], v[2:3], off offset:2432
	global_load_b128 v[168:171], v[2:3], off offset:2528
	v_mul_i32_i24_e32 v10, 0x90, v9
	v_mul_hi_i32_i24_e32 v11, 0x90, v9
	s_delay_alu instid0(VALU_DEP_2) | instskip(SKIP_1) | instid1(VALU_DEP_2)
	v_add_co_u32 v9, s0, s0, v10
	s_wait_alu 0xf1ff
	v_add_co_ci_u32_e64 v10, s0, s1, v11, s0
	s_mov_b32 s0, 0x4755a5e
	s_mov_b32 s1, 0x3fe2cf23
	s_wait_alu 0xfffe
	s_mov_b32 s2, s0
	global_load_b128 v[13:16], v[9:10], off offset:2432
	s_wait_loadcnt_dscnt 0x206
	v_mul_f64_e32 v[0:1], v[162:163], v[138:139]
	s_wait_loadcnt 0x0
	v_mul_f64_e32 v[11:12], v[66:67], v[15:16]
	scratch_store_b128 off, v[13:16], off offset:264 ; 16-byte Folded Spill
	v_fma_f64 v[190:191], v[160:161], v[136:137], -v[0:1]
	v_mul_f64_e32 v[0:1], v[160:161], v[138:139]
	v_fma_f64 v[194:195], v[64:65], v[13:14], -v[11:12]
	v_mul_f64_e32 v[11:12], v[64:65], v[15:16]
	s_delay_alu instid0(VALU_DEP_3)
	v_fma_f64 v[188:189], v[162:163], v[136:137], v[0:1]
	global_load_b128 v[160:163], v[2:3], off offset:2464
	v_fma_f64 v[192:193], v[66:67], v[13:14], v[11:12]
	global_load_b128 v[13:16], v[9:10], off offset:2528
	s_wait_loadcnt_dscnt 0x104
	v_mul_f64_e32 v[0:1], v[166:167], v[162:163]
	s_wait_loadcnt_dscnt 0x0
	v_mul_f64_e32 v[11:12], v[46:47], v[15:16]
	scratch_store_b128 off, v[13:16], off offset:280 ; 16-byte Folded Spill
	v_fma_f64 v[198:199], v[164:165], v[160:161], -v[0:1]
	v_mul_f64_e32 v[0:1], v[164:165], v[162:163]
	v_fma_f64 v[200:201], v[44:45], v[13:14], -v[11:12]
	v_mul_f64_e32 v[11:12], v[44:45], v[15:16]
	s_delay_alu instid0(VALU_DEP_4) | instskip(NEXT) | instid1(VALU_DEP_4)
	v_add_f64_e64 v[65:66], v[198:199], -v[190:191]
	v_fma_f64 v[202:203], v[166:167], v[160:161], v[0:1]
	global_load_b128 v[164:167], v[2:3], off offset:2496
	v_fma_f64 v[196:197], v[46:47], v[13:14], v[11:12]
	global_load_b128 v[13:16], v[9:10], off offset:2400
	s_wait_loadcnt 0x1
	v_mul_f64_e32 v[0:1], v[158:159], v[166:167]
	s_wait_loadcnt 0x0
	scratch_store_b128 off, v[13:16], off offset:184 ; 16-byte Folded Spill
	v_fma_f64 v[206:207], v[156:157], v[164:165], -v[0:1]
	v_mul_f64_e32 v[0:1], v[156:157], v[166:167]
	s_delay_alu instid0(VALU_DEP_1) | instskip(SKIP_4) | instid1(VALU_DEP_2)
	v_fma_f64 v[208:209], v[158:159], v[164:165], v[0:1]
	v_mul_f64_e32 v[0:1], v[142:143], v[170:171]
	global_load_b128 v[156:159], v[2:3], off offset:2400
	v_fma_f64 v[218:219], v[140:141], v[168:169], -v[0:1]
	v_mul_f64_e32 v[0:1], v[140:141], v[170:171]
	v_add_f64_e64 v[45:46], v[190:191], -v[218:219]
	s_delay_alu instid0(VALU_DEP_2) | instskip(SKIP_3) | instid1(VALU_DEP_1)
	v_fma_f64 v[214:215], v[142:143], v[168:169], v[0:1]
	global_load_b128 v[140:143], v[2:3], off offset:2416
	s_wait_loadcnt 0x1
	v_mul_f64_e32 v[6:7], v[60:61], v[158:159]
	v_fma_f64 v[6:7], v[62:63], v[156:157], v[6:7]
	s_wait_loadcnt 0x0
	v_mul_f64_e32 v[0:1], v[146:147], v[142:143]
	s_delay_alu instid0(VALU_DEP_1) | instskip(SKIP_1) | instid1(VALU_DEP_1)
	v_fma_f64 v[224:225], v[144:145], v[140:141], -v[0:1]
	v_mul_f64_e32 v[0:1], v[144:145], v[142:143]
	v_fma_f64 v[230:231], v[146:147], v[140:141], v[0:1]
	global_load_b128 v[144:147], v[2:3], off offset:2448
	s_wait_loadcnt 0x0
	v_mul_f64_e32 v[0:1], v[150:151], v[146:147]
	s_delay_alu instid0(VALU_DEP_1) | instskip(SKIP_1) | instid1(VALU_DEP_1)
	v_fma_f64 v[240:241], v[148:149], v[144:145], -v[0:1]
	v_mul_f64_e32 v[0:1], v[148:149], v[146:147]
	v_fma_f64 v[242:243], v[150:151], v[144:145], v[0:1]
	global_load_b128 v[148:151], v[2:3], off offset:2480
	;; [unrolled: 7-line block ×3, first 2 shown]
	v_mul_f64_e32 v[2:3], v[62:63], v[158:159]
	s_delay_alu instid0(VALU_DEP_1) | instskip(SKIP_3) | instid1(VALU_DEP_2)
	v_fma_f64 v[2:3], v[60:61], v[156:157], -v[2:3]
	s_wait_loadcnt 0x0
	v_mul_f64_e32 v[0:1], v[70:71], v[154:155]
	v_mul_f64_e32 v[4:5], v[68:69], v[154:155]
	v_fma_f64 v[0:1], v[68:69], v[152:153], -v[0:1]
	s_delay_alu instid0(VALU_DEP_2) | instskip(SKIP_3) | instid1(VALU_DEP_1)
	v_fma_f64 v[4:5], v[70:71], v[152:153], v[4:5]
	global_load_b128 v[68:71], v[9:10], off offset:2464
	s_wait_loadcnt 0x0
	v_mul_f64_e32 v[11:12], v[72:73], v[70:71]
	v_fma_f64 v[204:205], v[74:75], v[68:69], v[11:12]
	v_mul_f64_e32 v[11:12], v[74:75], v[70:71]
	s_delay_alu instid0(VALU_DEP_1) | instskip(SKIP_3) | instid1(VALU_DEP_1)
	v_fma_f64 v[212:213], v[72:73], v[68:69], -v[11:12]
	global_load_b128 v[72:75], v[9:10], off offset:2496
	s_wait_loadcnt 0x0
	v_mul_f64_e32 v[11:12], v[40:41], v[74:75]
	v_fma_f64 v[210:211], v[42:43], v[72:73], v[11:12]
	v_mul_f64_e32 v[11:12], v[42:43], v[74:75]
	s_delay_alu instid0(VALU_DEP_1) | instskip(SKIP_1) | instid1(VALU_DEP_1)
	v_fma_f64 v[220:221], v[40:41], v[72:73], -v[11:12]
	v_mul_f64_e32 v[11:12], v[50:51], v[15:16]
	v_fma_f64 v[216:217], v[48:49], v[13:14], -v[11:12]
	v_mul_f64_e32 v[11:12], v[48:49], v[15:16]
	v_add_f64_e64 v[47:48], v[198:199], -v[206:207]
	s_delay_alu instid0(VALU_DEP_3) | instskip(NEXT) | instid1(VALU_DEP_3)
	v_add_f64_e32 v[21:22], v[216:217], v[194:195]
	v_fma_f64 v[222:223], v[50:51], v[13:14], v[11:12]
	global_load_b128 v[13:16], v[9:10], off offset:2416
	v_add_f64_e64 v[49:50], v[188:189], -v[214:215]
	v_add_f64_e32 v[21:22], v[21:22], v[212:213]
	v_add_f64_e32 v[23:24], v[222:223], v[192:193]
	s_delay_alu instid0(VALU_DEP_2) | instskip(NEXT) | instid1(VALU_DEP_2)
	v_add_f64_e32 v[21:22], v[21:22], v[220:221]
	v_add_f64_e32 v[23:24], v[23:24], v[204:205]
	s_delay_alu instid0(VALU_DEP_2) | instskip(NEXT) | instid1(VALU_DEP_2)
	v_add_f64_e32 v[21:22], v[21:22], v[200:201]
	v_add_f64_e32 v[23:24], v[23:24], v[210:211]
	s_delay_alu instid0(VALU_DEP_1)
	v_add_f64_e32 v[23:24], v[23:24], v[196:197]
	s_wait_loadcnt 0x0
	v_mul_f64_e32 v[11:12], v[54:55], v[15:16]
	scratch_store_b128 off, v[13:16], off offset:200 ; 16-byte Folded Spill
	v_fma_f64 v[226:227], v[52:53], v[13:14], -v[11:12]
	v_mul_f64_e32 v[11:12], v[52:53], v[15:16]
	v_add_f64_e64 v[51:52], v[202:203], -v[208:209]
	s_delay_alu instid0(VALU_DEP_2)
	v_fma_f64 v[228:229], v[54:55], v[13:14], v[11:12]
	global_load_b128 v[13:16], v[9:10], off offset:2448
	v_add_f64_e64 v[53:54], v[230:231], -v[4:5]
	s_wait_loadcnt 0x0
	v_mul_f64_e32 v[11:12], v[186:187], v[15:16]
	scratch_store_b128 off, v[13:16], off offset:216 ; 16-byte Folded Spill
	v_fma_f64 v[232:233], v[184:185], v[13:14], -v[11:12]
	v_mul_f64_e32 v[11:12], v[184:185], v[15:16]
	s_delay_alu instid0(VALU_DEP_1)
	v_fma_f64 v[234:235], v[186:187], v[13:14], v[11:12]
	global_load_b128 v[13:16], v[9:10], off offset:2480
	s_wait_loadcnt 0x0
	v_mul_f64_e32 v[11:12], v[58:59], v[15:16]
	scratch_store_b128 off, v[13:16], off offset:232 ; 16-byte Folded Spill
	v_fma_f64 v[236:237], v[56:57], v[13:14], -v[11:12]
	v_mul_f64_e32 v[11:12], v[56:57], v[15:16]
	v_add_f64_e32 v[15:16], v[6:7], v[188:189]
	v_add_f64_e64 v[55:56], v[242:243], -v[246:247]
	s_delay_alu instid0(VALU_DEP_3) | instskip(SKIP_4) | instid1(VALU_DEP_3)
	v_fma_f64 v[238:239], v[58:59], v[13:14], v[11:12]
	global_load_b128 v[11:14], v[9:10], off offset:2512
	v_add_f64_e32 v[15:16], v[15:16], v[202:203]
	v_add_f64_e64 v[57:58], v[224:225], -v[0:1]
	v_add_f64_e64 v[59:60], v[240:241], -v[244:245]
	v_add_f64_e32 v[15:16], v[15:16], v[208:209]
	s_delay_alu instid0(VALU_DEP_1)
	v_add_f64_e32 v[15:16], v[15:16], v[214:215]
	s_wait_loadcnt 0x0
	v_mul_f64_e32 v[9:10], v[174:175], v[13:14]
	scratch_store_b128 off, v[11:14], off offset:248 ; 16-byte Folded Spill
	v_fma_f64 v[248:249], v[172:173], v[11:12], -v[9:10]
	v_mul_f64_e32 v[9:10], v[172:173], v[13:14]
	v_add_f64_e32 v[13:14], v[2:3], v[190:191]
	s_delay_alu instid0(VALU_DEP_2) | instskip(SKIP_1) | instid1(VALU_DEP_3)
	v_fma_f64 v[250:251], v[174:175], v[11:12], v[9:10]
	v_add_f64_e32 v[9:10], v[240:241], v[244:245]
	v_add_f64_e32 v[13:14], v[13:14], v[198:199]
	;; [unrolled: 1-line block ×3, first 2 shown]
	s_delay_alu instid0(VALU_DEP_3) | instskip(SKIP_1) | instid1(VALU_DEP_4)
	v_fma_f64 v[25:26], v[9:10], -0.5, v[180:181]
	v_add_f64_e32 v[9:10], v[224:225], v[0:1]
	v_add_f64_e32 v[13:14], v[13:14], v[206:207]
	s_delay_alu instid0(VALU_DEP_4) | instskip(NEXT) | instid1(VALU_DEP_3)
	v_add_f64_e32 v[11:12], v[11:12], v[242:243]
	v_fma_f64 v[27:28], v[9:10], -0.5, v[180:181]
	v_add_f64_e32 v[9:10], v[242:243], v[246:247]
	s_delay_alu instid0(VALU_DEP_4) | instskip(NEXT) | instid1(VALU_DEP_4)
	v_add_f64_e32 v[13:14], v[13:14], v[218:219]
	v_add_f64_e32 v[11:12], v[11:12], v[246:247]
	s_delay_alu instid0(VALU_DEP_3) | instskip(SKIP_1) | instid1(VALU_DEP_3)
	v_fma_f64 v[29:30], v[9:10], -0.5, v[182:183]
	v_add_f64_e32 v[9:10], v[230:231], v[4:5]
	v_add_f64_e32 v[19:20], v[11:12], v[4:5]
	s_delay_alu instid0(VALU_DEP_2) | instskip(SKIP_1) | instid1(VALU_DEP_3)
	v_fma_f64 v[31:32], v[9:10], -0.5, v[182:183]
	v_add_f64_e32 v[9:10], v[180:181], v[224:225]
	v_add_f64_e32 v[11:12], v[19:20], v[15:16]
	v_add_f64_e64 v[15:16], v[19:20], -v[15:16]
	v_add_f64_e32 v[19:20], v[176:177], v[226:227]
	s_delay_alu instid0(VALU_DEP_4) | instskip(NEXT) | instid1(VALU_DEP_2)
	v_add_f64_e32 v[9:10], v[9:10], v[240:241]
	v_add_f64_e32 v[19:20], v[19:20], v[232:233]
	s_delay_alu instid0(VALU_DEP_2) | instskip(NEXT) | instid1(VALU_DEP_2)
	v_add_f64_e32 v[9:10], v[9:10], v[244:245]
	v_add_f64_e32 v[19:20], v[19:20], v[236:237]
	s_delay_alu instid0(VALU_DEP_2) | instskip(NEXT) | instid1(VALU_DEP_2)
	v_add_f64_e32 v[17:18], v[9:10], v[0:1]
	v_add_f64_e32 v[19:20], v[19:20], v[248:249]
	s_delay_alu instid0(VALU_DEP_2) | instskip(SKIP_2) | instid1(VALU_DEP_4)
	v_add_f64_e32 v[9:10], v[17:18], v[13:14]
	v_add_f64_e64 v[13:14], v[17:18], -v[13:14]
	v_add_f64_e32 v[17:18], v[232:233], v[236:237]
	v_add_f64_e32 v[172:173], v[19:20], v[21:22]
	s_delay_alu instid0(VALU_DEP_2) | instskip(SKIP_1) | instid1(VALU_DEP_1)
	v_fma_f64 v[33:34], v[17:18], -0.5, v[176:177]
	v_add_f64_e32 v[17:18], v[226:227], v[248:249]
	v_fma_f64 v[35:36], v[17:18], -0.5, v[176:177]
	v_add_f64_e32 v[17:18], v[234:235], v[238:239]
	v_add_f64_e64 v[176:177], v[19:20], -v[21:22]
	v_add_f64_e64 v[19:20], v[0:1], -v[244:245]
	;; [unrolled: 1-line block ×3, first 2 shown]
	s_delay_alu instid0(VALU_DEP_4) | instskip(SKIP_1) | instid1(VALU_DEP_1)
	v_fma_f64 v[37:38], v[17:18], -0.5, v[178:179]
	v_add_f64_e32 v[17:18], v[228:229], v[250:251]
	v_fma_f64 v[39:40], v[17:18], -0.5, v[178:179]
	v_add_f64_e32 v[17:18], v[178:179], v[228:229]
	s_delay_alu instid0(VALU_DEP_1) | instskip(NEXT) | instid1(VALU_DEP_1)
	v_add_f64_e32 v[17:18], v[17:18], v[234:235]
	v_add_f64_e32 v[17:18], v[17:18], v[238:239]
	s_delay_alu instid0(VALU_DEP_1) | instskip(NEXT) | instid1(VALU_DEP_1)
	v_add_f64_e32 v[17:18], v[17:18], v[250:251]
	v_add_f64_e32 v[174:175], v[17:18], v[23:24]
	v_add_f64_e64 v[178:179], v[17:18], -v[23:24]
	v_add_f64_e64 v[17:18], v[224:225], -v[240:241]
	s_delay_alu instid0(VALU_DEP_1) | instskip(SKIP_3) | instid1(VALU_DEP_2)
	v_add_f64_e32 v[41:42], v[17:18], v[19:20]
	v_add_f64_e64 v[17:18], v[230:231], -v[242:243]
	v_add_f64_e64 v[19:20], v[4:5], -v[246:247]
	;; [unrolled: 1-line block ×3, first 2 shown]
	v_add_f64_e32 v[180:181], v[17:18], v[19:20]
	v_add_f64_e64 v[17:18], v[190:191], -v[198:199]
	v_add_f64_e64 v[19:20], v[218:219], -v[206:207]
	v_add_f64_e32 v[190:191], v[190:191], v[218:219]
	s_delay_alu instid0(VALU_DEP_2) | instskip(SKIP_2) | instid1(VALU_DEP_4)
	v_add_f64_e32 v[182:183], v[17:18], v[19:20]
	v_add_f64_e64 v[17:18], v[188:189], -v[202:203]
	v_add_f64_e64 v[19:20], v[214:215], -v[208:209]
	v_fma_f64 v[190:191], v[190:191], -0.5, v[2:3]
	s_delay_alu instid0(VALU_DEP_2) | instskip(SKIP_3) | instid1(VALU_DEP_3)
	v_add_f64_e32 v[184:185], v[17:18], v[19:20]
	v_add_f64_e32 v[17:18], v[198:199], v[206:207]
	v_add_f64_e64 v[198:199], v[206:207], -v[218:219]
	v_add_f64_e64 v[206:207], v[208:209], -v[214:215]
	v_fma_f64 v[186:187], v[17:18], -0.5, v[2:3]
	v_add_f64_e32 v[17:18], v[202:203], v[208:209]
	v_add_f64_e64 v[202:203], v[202:203], -v[188:189]
	v_add_f64_e32 v[188:189], v[188:189], v[214:215]
	v_add_f64_e32 v[65:66], v[65:66], v[198:199]
	v_fma_f64 v[2:3], v[51:52], s[16:17], v[190:191]
	v_fma_f64 v[190:191], v[51:52], s[14:15], v[190:191]
	v_add_f64_e64 v[208:209], v[226:227], -v[248:249]
	v_add_f64_e64 v[214:215], v[232:233], -v[236:237]
	v_fma_f64 v[19:20], v[49:50], s[14:15], v[186:187]
	v_fma_f64 v[43:44], v[17:18], -0.5, v[6:7]
	v_add_f64_e32 v[198:199], v[202:203], v[206:207]
	v_fma_f64 v[188:189], v[188:189], -0.5, v[6:7]
	v_fma_f64 v[2:3], v[49:50], s[0:1], v[2:3]
	s_wait_alu 0xfffe
	v_fma_f64 v[190:191], v[49:50], s[2:3], v[190:191]
	v_fma_f64 v[19:20], v[51:52], s[0:1], v[19:20]
	v_fma_f64 v[17:18], v[45:46], s[16:17], v[43:44]
	s_delay_alu instid0(VALU_DEP_4) | instskip(NEXT) | instid1(VALU_DEP_4)
	v_fma_f64 v[2:3], v[65:66], s[8:9], v[2:3]
	v_fma_f64 v[65:66], v[65:66], s[8:9], v[190:191]
	v_add_f64_e64 v[190:191], v[238:239], -v[250:251]
	v_fma_f64 v[19:20], v[182:183], s[8:9], v[19:20]
	v_fma_f64 v[17:18], v[47:48], s[2:3], v[17:18]
	s_delay_alu instid0(VALU_DEP_1) | instskip(NEXT) | instid1(VALU_DEP_1)
	v_fma_f64 v[17:18], v[184:185], s[8:9], v[17:18]
	v_mul_f64_e32 v[21:22], s[0:1], v[17:18]
	s_delay_alu instid0(VALU_DEP_1) | instskip(SKIP_1) | instid1(VALU_DEP_1)
	v_fma_f64 v[21:22], v[19:20], s[18:19], v[21:22]
	v_mul_f64_e32 v[19:20], s[2:3], v[19:20]
	v_fma_f64 v[23:24], v[17:18], s[18:19], v[19:20]
	v_fma_f64 v[17:18], v[53:54], s[14:15], v[25:26]
	;; [unrolled: 1-line block ×5, first 2 shown]
	s_delay_alu instid0(VALU_DEP_4) | instskip(NEXT) | instid1(VALU_DEP_4)
	v_fma_f64 v[17:18], v[55:56], s[0:1], v[17:18]
	v_fma_f64 v[19:20], v[59:60], s[2:3], v[19:20]
	s_delay_alu instid0(VALU_DEP_4) | instskip(NEXT) | instid1(VALU_DEP_4)
	v_fma_f64 v[25:26], v[55:56], s[2:3], v[25:26]
	v_fma_f64 v[29:30], v[59:60], s[0:1], v[29:30]
	;; [unrolled: 3-line block ×3, first 2 shown]
	s_delay_alu instid0(VALU_DEP_4) | instskip(NEXT) | instid1(VALU_DEP_3)
	v_fma_f64 v[41:42], v[41:42], s[8:9], v[25:26]
	v_add_f64_e32 v[17:18], v[61:62], v[21:22]
	v_add_f64_e64 v[21:22], v[61:62], -v[21:22]
	v_add_f64_e64 v[61:62], v[240:241], -v[224:225]
	v_add_f64_e32 v[19:20], v[63:64], v[23:24]
	v_add_f64_e64 v[23:24], v[63:64], -v[23:24]
	v_add_f64_e64 v[63:64], v[242:243], -v[230:231]
	s_delay_alu instid0(VALU_DEP_4) | instskip(SKIP_2) | instid1(VALU_DEP_4)
	v_add_f64_e32 v[61:62], v[61:62], v[0:1]
	v_fma_f64 v[0:1], v[47:48], s[14:15], v[188:189]
	v_fma_f64 v[188:189], v[47:48], s[16:17], v[188:189]
	v_add_f64_e32 v[63:64], v[63:64], v[4:5]
	s_delay_alu instid0(VALU_DEP_3) | instskip(NEXT) | instid1(VALU_DEP_3)
	v_fma_f64 v[0:1], v[45:46], s[2:3], v[0:1]
	v_fma_f64 v[188:189], v[45:46], s[0:1], v[188:189]
	s_delay_alu instid0(VALU_DEP_2) | instskip(NEXT) | instid1(VALU_DEP_2)
	v_fma_f64 v[0:1], v[198:199], s[8:9], v[0:1]
	v_fma_f64 v[188:189], v[198:199], s[8:9], v[188:189]
	v_add_f64_e64 v[198:199], v[212:213], -v[194:195]
	s_delay_alu instid0(VALU_DEP_3) | instskip(NEXT) | instid1(VALU_DEP_1)
	v_mul_f64_e32 v[4:5], s[14:15], v[0:1]
	v_fma_f64 v[4:5], v[2:3], s[8:9], v[4:5]
	v_mul_f64_e32 v[2:3], s[16:17], v[2:3]
	s_delay_alu instid0(VALU_DEP_1)
	v_fma_f64 v[6:7], v[0:1], s[8:9], v[2:3]
	v_fma_f64 v[0:1], v[55:56], s[16:17], v[27:28]
	;; [unrolled: 1-line block ×5, first 2 shown]
	v_add_f64_e64 v[55:56], v[212:213], -v[220:221]
	v_add_f64_e64 v[59:60], v[192:193], -v[196:197]
	v_fma_f64 v[0:1], v[53:54], s[0:1], v[0:1]
	v_fma_f64 v[27:28], v[53:54], s[2:3], v[27:28]
	v_fma_f64 v[2:3], v[57:58], s[2:3], v[2:3]
	v_fma_f64 v[31:32], v[57:58], s[0:1], v[31:32]
	v_add_f64_e64 v[53:54], v[194:195], -v[200:201]
	v_fma_f64 v[202:203], v[61:62], s[8:9], v[0:1]
	v_fma_f64 v[27:28], v[61:62], s[8:9], v[27:28]
	v_mul_f64_e32 v[61:62], s[8:9], v[65:66]
	v_fma_f64 v[206:207], v[63:64], s[8:9], v[2:3]
	v_fma_f64 v[31:32], v[63:64], s[8:9], v[31:32]
	v_mul_f64_e32 v[63:64], s[8:9], v[188:189]
	v_add_f64_e32 v[0:1], v[202:203], v[4:5]
	v_add_f64_e64 v[4:5], v[202:203], -v[4:5]
	v_fma_f64 v[61:62], v[188:189], s[14:15], -v[61:62]
	v_add_f64_e64 v[202:203], v[234:235], -v[238:239]
	v_add_f64_e64 v[188:189], v[234:235], -v[228:229]
	v_fma_f64 v[63:64], v[65:66], s[16:17], -v[63:64]
	v_add_f64_e32 v[2:3], v[206:207], v[6:7]
	v_add_f64_e64 v[6:7], v[206:207], -v[6:7]
	v_add_f64_e32 v[240:241], v[27:28], v[61:62]
	v_add_f64_e64 v[244:245], v[27:28], -v[61:62]
	v_fma_f64 v[27:28], v[49:50], s[16:17], v[186:187]
	v_add_f64_e32 v[242:243], v[31:32], v[63:64]
	v_add_f64_e64 v[246:247], v[31:32], -v[63:64]
	v_fma_f64 v[31:32], v[45:46], s[14:15], v[43:44]
	v_fma_f64 v[43:44], v[180:181], s[8:9], v[29:30]
	v_add_f64_e64 v[45:46], v[250:251], -v[238:239]
	v_add_f64_e64 v[49:50], v[196:197], -v[210:211]
	;; [unrolled: 1-line block ×3, first 2 shown]
	v_fma_f64 v[27:28], v[51:52], s[2:3], v[27:28]
	v_add_f64_e32 v[51:52], v[212:213], v[220:221]
	v_fma_f64 v[31:32], v[47:48], s[0:1], v[31:32]
	v_add_f64_e64 v[47:48], v[200:201], -v[220:221]
	s_delay_alu instid0(VALU_DEP_4) | instskip(NEXT) | instid1(VALU_DEP_4)
	v_fma_f64 v[27:28], v[182:183], s[8:9], v[27:28]
	v_fma_f64 v[51:52], v[51:52], -0.5, v[216:217]
	v_fma_f64 v[182:183], v[208:209], s[16:17], v[37:38]
	v_fma_f64 v[31:32], v[184:185], s[8:9], v[31:32]
	;; [unrolled: 1-line block ×3, first 2 shown]
	v_mul_f64_e32 v[25:26], s[18:19], v[27:28]
	v_fma_f64 v[63:64], v[59:60], s[14:15], v[51:52]
	v_fma_f64 v[182:183], v[214:215], s[2:3], v[182:183]
	s_delay_alu instid0(VALU_DEP_4) | instskip(NEXT) | instid1(VALU_DEP_4)
	v_fma_f64 v[37:38], v[214:215], s[0:1], v[37:38]
	v_fma_f64 v[29:30], v[31:32], s[0:1], -v[25:26]
	v_mul_f64_e32 v[25:26], s[18:19], v[31:32]
	v_fma_f64 v[63:64], v[61:62], s[0:1], v[63:64]
	s_delay_alu instid0(VALU_DEP_2) | instskip(NEXT) | instid1(VALU_DEP_4)
	v_fma_f64 v[31:32], v[27:28], s[2:3], -v[25:26]
	v_add_f64_e32 v[25:26], v[41:42], v[29:30]
	v_add_f64_e64 v[29:30], v[41:42], -v[29:30]
	v_add_f64_e64 v[41:42], v[226:227], -v[232:233]
	s_delay_alu instid0(VALU_DEP_4)
	v_add_f64_e32 v[27:28], v[43:44], v[31:32]
	v_add_f64_e64 v[31:32], v[43:44], -v[31:32]
	v_add_f64_e64 v[43:44], v[248:249], -v[236:237]
	ds_store_b128 v252, v[9:12]
	ds_store_b128 v252, v[17:20] offset:2560
	ds_store_b128 v252, v[0:3] offset:5120
	;; [unrolled: 1-line block ×9, first 2 shown]
	v_add_f64_e32 v[41:42], v[41:42], v[43:44]
	v_add_f64_e64 v[43:44], v[228:229], -v[234:235]
	s_delay_alu instid0(VALU_DEP_1) | instskip(SKIP_3) | instid1(VALU_DEP_4)
	v_add_f64_e32 v[43:44], v[43:44], v[45:46]
	v_add_f64_e64 v[45:46], v[194:195], -v[212:213]
	v_add_f64_e32 v[194:195], v[194:195], v[200:201]
	v_add_f64_e64 v[200:201], v[220:221], -v[200:201]
	v_fma_f64 v[186:187], v[43:44], s[8:9], v[182:183]
	s_delay_alu instid0(VALU_DEP_4)
	v_add_f64_e32 v[45:46], v[45:46], v[47:48]
	v_add_f64_e64 v[47:48], v[192:193], -v[204:205]
	v_fma_f64 v[194:195], v[194:195], -0.5, v[216:217]
	v_add_f64_e32 v[200:201], v[198:199], v[200:201]
	v_fma_f64 v[37:38], v[43:44], s[8:9], v[37:38]
	v_fma_f64 v[63:64], v[45:46], s[8:9], v[63:64]
	v_add_f64_e32 v[47:48], v[47:48], v[49:50]
	v_add_f64_e32 v[49:50], v[204:205], v[210:211]
	v_add_f64_e64 v[204:205], v[204:205], -v[192:193]
	v_add_f64_e32 v[192:193], v[192:193], v[196:197]
	v_add_f64_e64 v[196:197], v[210:211], -v[196:197]
	s_delay_alu instid0(VALU_DEP_4) | instskip(NEXT) | instid1(VALU_DEP_3)
	v_fma_f64 v[49:50], v[49:50], -0.5, v[222:223]
	v_fma_f64 v[192:193], v[192:193], -0.5, v[222:223]
	s_delay_alu instid0(VALU_DEP_3) | instskip(NEXT) | instid1(VALU_DEP_3)
	v_add_f64_e32 v[204:205], v[204:205], v[196:197]
	v_fma_f64 v[57:58], v[53:54], s[16:17], v[49:50]
	s_delay_alu instid0(VALU_DEP_1) | instskip(NEXT) | instid1(VALU_DEP_1)
	v_fma_f64 v[57:58], v[55:56], s[2:3], v[57:58]
	v_fma_f64 v[57:58], v[47:48], s[8:9], v[57:58]
	s_delay_alu instid0(VALU_DEP_1) | instskip(NEXT) | instid1(VALU_DEP_1)
	v_mul_f64_e32 v[65:66], s[0:1], v[57:58]
	v_fma_f64 v[65:66], v[63:64], s[18:19], v[65:66]
	v_mul_f64_e32 v[63:64], s[2:3], v[63:64]
	s_delay_alu instid0(VALU_DEP_1) | instskip(SKIP_1) | instid1(VALU_DEP_2)
	v_fma_f64 v[57:58], v[57:58], s[18:19], v[63:64]
	v_add_f64_e64 v[63:64], v[228:229], -v[250:251]
	v_add_f64_e32 v[182:183], v[186:187], v[57:58]
	s_delay_alu instid0(VALU_DEP_2) | instskip(SKIP_3) | instid1(VALU_DEP_4)
	v_fma_f64 v[180:181], v[63:64], s[14:15], v[33:34]
	v_add_f64_e64 v[186:187], v[186:187], -v[57:58]
	v_add_f64_e64 v[57:58], v[232:233], -v[226:227]
	v_fma_f64 v[33:34], v[63:64], s[16:17], v[33:34]
	v_fma_f64 v[180:181], v[202:203], s[0:1], v[180:181]
	s_delay_alu instid0(VALU_DEP_2) | instskip(NEXT) | instid1(VALU_DEP_2)
	v_fma_f64 v[33:34], v[202:203], s[2:3], v[33:34]
	v_fma_f64 v[184:185], v[41:42], s[8:9], v[180:181]
	s_delay_alu instid0(VALU_DEP_2) | instskip(NEXT) | instid1(VALU_DEP_2)
	v_fma_f64 v[33:34], v[41:42], s[8:9], v[33:34]
	v_add_f64_e32 v[180:181], v[184:185], v[65:66]
	v_add_f64_e64 v[184:185], v[184:185], -v[65:66]
	v_add_f64_e64 v[65:66], v[236:237], -v[248:249]
	s_delay_alu instid0(VALU_DEP_1)
	v_add_f64_e32 v[57:58], v[57:58], v[65:66]
	v_add_f64_e32 v[65:66], v[188:189], v[190:191]
	v_fma_f64 v[188:189], v[55:56], s[14:15], v[192:193]
	v_fma_f64 v[190:191], v[61:62], s[16:17], v[194:195]
	;; [unrolled: 1-line block ×4, first 2 shown]
	s_delay_alu instid0(VALU_DEP_4) | instskip(NEXT) | instid1(VALU_DEP_4)
	v_fma_f64 v[188:189], v[53:54], s[2:3], v[188:189]
	v_fma_f64 v[190:191], v[59:60], s[0:1], v[190:191]
	s_delay_alu instid0(VALU_DEP_4) | instskip(NEXT) | instid1(VALU_DEP_4)
	v_fma_f64 v[194:195], v[59:60], s[2:3], v[194:195]
	v_fma_f64 v[192:193], v[53:54], s[0:1], v[192:193]
	;; [unrolled: 3-line block ×4, first 2 shown]
	s_delay_alu instid0(VALU_DEP_4) | instskip(NEXT) | instid1(VALU_DEP_1)
	v_mul_f64_e32 v[196:197], s[14:15], v[188:189]
	v_fma_f64 v[196:197], v[190:191], s[8:9], v[196:197]
	v_mul_f64_e32 v[190:191], s[16:17], v[190:191]
	s_delay_alu instid0(VALU_DEP_1) | instskip(SKIP_4) | instid1(VALU_DEP_4)
	v_fma_f64 v[198:199], v[188:189], s[8:9], v[190:191]
	v_fma_f64 v[188:189], v[202:203], s[16:17], v[35:36]
	;; [unrolled: 1-line block ×6, first 2 shown]
	s_delay_alu instid0(VALU_DEP_4) | instskip(NEXT) | instid1(VALU_DEP_4)
	v_fma_f64 v[35:36], v[63:64], s[2:3], v[35:36]
	v_fma_f64 v[190:191], v[208:209], s[2:3], v[190:191]
	s_delay_alu instid0(VALU_DEP_4) | instskip(NEXT) | instid1(VALU_DEP_4)
	v_fma_f64 v[39:40], v[208:209], s[0:1], v[39:40]
	v_fma_f64 v[206:207], v[57:58], s[8:9], v[188:189]
	s_delay_alu instid0(VALU_DEP_4)
	v_fma_f64 v[35:36], v[57:58], s[8:9], v[35:36]
	v_mul_f64_e32 v[57:58], s[8:9], v[194:195]
	v_fma_f64 v[210:211], v[65:66], s[8:9], v[190:191]
	v_fma_f64 v[39:40], v[65:66], s[8:9], v[39:40]
	v_mul_f64_e32 v[65:66], s[8:9], v[192:193]
	v_add_f64_e32 v[188:189], v[206:207], v[196:197]
	v_add_f64_e64 v[196:197], v[206:207], -v[196:197]
	v_fma_f64 v[57:58], v[192:193], s[14:15], -v[57:58]
	v_add_f64_e32 v[190:191], v[210:211], v[198:199]
	v_add_f64_e64 v[198:199], v[210:211], -v[198:199]
	v_fma_f64 v[65:66], v[194:195], s[16:17], -v[65:66]
	s_delay_alu instid0(VALU_DEP_4) | instskip(SKIP_2) | instid1(VALU_DEP_4)
	v_add_f64_e32 v[192:193], v[35:36], v[57:58]
	v_add_f64_e64 v[204:205], v[35:36], -v[57:58]
	v_fma_f64 v[35:36], v[59:60], s[16:17], v[51:52]
	v_add_f64_e32 v[194:195], v[39:40], v[65:66]
	v_add_f64_e64 v[206:207], v[39:40], -v[65:66]
	v_fma_f64 v[39:40], v[53:54], s[14:15], v[49:50]
	s_delay_alu instid0(VALU_DEP_4) | instskip(NEXT) | instid1(VALU_DEP_2)
	v_fma_f64 v[35:36], v[61:62], s[2:3], v[35:36]
	v_fma_f64 v[39:40], v[55:56], s[0:1], v[39:40]
	s_delay_alu instid0(VALU_DEP_2) | instskip(NEXT) | instid1(VALU_DEP_2)
	v_fma_f64 v[35:36], v[45:46], s[8:9], v[35:36]
	v_fma_f64 v[39:40], v[47:48], s[8:9], v[39:40]
	s_delay_alu instid0(VALU_DEP_2) | instskip(NEXT) | instid1(VALU_DEP_1)
	v_mul_f64_e32 v[41:42], s[18:19], v[35:36]
	v_fma_f64 v[41:42], v[39:40], s[0:1], -v[41:42]
	v_mul_f64_e32 v[39:40], s[18:19], v[39:40]
	s_delay_alu instid0(VALU_DEP_2) | instskip(NEXT) | instid1(VALU_DEP_2)
	v_add_f64_e32 v[200:201], v[33:34], v[41:42]
	v_fma_f64 v[35:36], v[35:36], s[2:3], -v[39:40]
	v_add_f64_e64 v[208:209], v[33:34], -v[41:42]
	s_delay_alu instid0(VALU_DEP_2)
	v_add_f64_e32 v[202:203], v[37:38], v[35:36]
	v_add_f64_e64 v[210:211], v[37:38], -v[35:36]
	s_and_saveexec_b32 s0, vcc_lo
	s_cbranch_execz .LBB0_11
; %bb.10:
	ds_store_b128 v252, v[172:175] offset:1600
	ds_store_b128 v252, v[180:183] offset:4160
	;; [unrolled: 1-line block ×10, first 2 shown]
.LBB0_11:
	s_wait_alu 0xfffe
	s_or_b32 exec_lo, exec_lo, s0
	global_wb scope:SCOPE_SE
	s_wait_storecnt_dscnt 0x0
	s_barrier_signal -1
	s_barrier_wait -1
	global_inv scope:SCOPE_SE
	global_load_b128 v[1:4], v[253:254], off offset:25600
	scratch_load_b32 v0, off, off           ; 4-byte Folded Reload
	s_add_nc_u64 s[0:1], s[12:13], 0x6400
	s_wait_loadcnt 0x0
	v_lshlrev_b32_e32 v0, 4, v0
	s_clause 0x3
	global_load_b128 v[9:12], v0, s[0:1] offset:2560
	global_load_b128 v[13:16], v0, s[0:1] offset:5120
	;; [unrolled: 1-line block ×4, first 2 shown]
	ds_load_b128 v[25:28], v252
	ds_load_b128 v[212:215], v252 offset:15360
	ds_load_b128 v[216:219], v252 offset:17920
	;; [unrolled: 1-line block ×4, first 2 shown]
	s_wait_dscnt 0x4
	v_mul_f64_e32 v[5:6], v[27:28], v[3:4]
	v_mul_f64_e32 v[29:30], v[25:26], v[3:4]
	s_delay_alu instid0(VALU_DEP_2) | instskip(NEXT) | instid1(VALU_DEP_2)
	v_fma_f64 v[3:4], v[25:26], v[1:2], -v[5:6]
	v_fma_f64 v[5:6], v[27:28], v[1:2], v[29:30]
	ds_load_b128 v[25:28], v252 offset:2560
	ds_load_b128 v[29:32], v252 offset:12800
	s_wait_loadcnt_dscnt 0x301
	v_mul_f64_e32 v[1:2], v[27:28], v[11:12]
	v_mul_f64_e32 v[11:12], v[25:26], v[11:12]
	s_delay_alu instid0(VALU_DEP_2) | instskip(NEXT) | instid1(VALU_DEP_2)
	v_fma_f64 v[25:26], v[25:26], v[9:10], -v[1:2]
	v_fma_f64 v[27:28], v[27:28], v[9:10], v[11:12]
	ds_load_b128 v[9:12], v252 offset:5120
	s_wait_loadcnt_dscnt 0x200
	v_mul_f64_e32 v[1:2], v[11:12], v[15:16]
	v_mul_f64_e32 v[15:16], v[9:10], v[15:16]
	s_delay_alu instid0(VALU_DEP_2) | instskip(NEXT) | instid1(VALU_DEP_2)
	v_fma_f64 v[9:10], v[9:10], v[13:14], -v[1:2]
	v_fma_f64 v[11:12], v[11:12], v[13:14], v[15:16]
	;; [unrolled: 7-line block ×4, first 2 shown]
	global_load_b128 v[21:24], v0, s[0:1] offset:12800
	s_wait_loadcnt 0x0
	v_mul_f64_e32 v[1:2], v[31:32], v[23:24]
	v_mul_f64_e32 v[23:24], v[29:30], v[23:24]
	s_delay_alu instid0(VALU_DEP_2) | instskip(NEXT) | instid1(VALU_DEP_2)
	v_fma_f64 v[29:30], v[29:30], v[21:22], -v[1:2]
	v_fma_f64 v[31:32], v[31:32], v[21:22], v[23:24]
	global_load_b128 v[21:24], v0, s[0:1] offset:15360
	s_wait_loadcnt 0x0
	v_mul_f64_e32 v[1:2], v[214:215], v[23:24]
	v_mul_f64_e32 v[23:24], v[212:213], v[23:24]
	s_delay_alu instid0(VALU_DEP_2) | instskip(NEXT) | instid1(VALU_DEP_2)
	v_fma_f64 v[212:213], v[212:213], v[21:22], -v[1:2]
	v_fma_f64 v[214:215], v[214:215], v[21:22], v[23:24]
	;; [unrolled: 7-line block ×5, first 2 shown]
	ds_store_b128 v252, v[3:6]
	ds_store_b128 v252, v[25:28] offset:2560
	ds_store_b128 v252, v[9:12] offset:5120
	;; [unrolled: 1-line block ×9, first 2 shown]
	s_and_saveexec_b32 s2, vcc_lo
	s_cbranch_execz .LBB0_13
; %bb.12:
	s_wait_alu 0xfffe
	v_add_co_u32 v35, s0, s0, v0
	s_wait_alu 0xf1ff
	v_add_co_ci_u32_e64 v36, null, s1, 0, s0
	s_clause 0x5
	global_load_b128 v[0:3], v[35:36], off offset:1600
	global_load_b128 v[4:7], v[35:36], off offset:4160
	;; [unrolled: 1-line block ×6, first 2 shown]
	ds_load_b128 v[21:24], v252 offset:1600
	ds_load_b128 v[212:215], v252 offset:19520
	;; [unrolled: 1-line block ×4, first 2 shown]
	s_wait_loadcnt_dscnt 0x503
	v_mul_f64_e32 v[29:30], v[23:24], v[2:3]
	v_mul_f64_e32 v[2:3], v[21:22], v[2:3]
	s_delay_alu instid0(VALU_DEP_2) | instskip(NEXT) | instid1(VALU_DEP_2)
	v_fma_f64 v[21:22], v[21:22], v[0:1], -v[29:30]
	v_fma_f64 v[23:24], v[23:24], v[0:1], v[2:3]
	ds_load_b128 v[0:3], v252 offset:4160
	s_wait_loadcnt_dscnt 0x400
	v_mul_f64_e32 v[29:30], v[2:3], v[6:7]
	v_mul_f64_e32 v[6:7], v[0:1], v[6:7]
	s_delay_alu instid0(VALU_DEP_2) | instskip(NEXT) | instid1(VALU_DEP_2)
	v_fma_f64 v[0:1], v[0:1], v[4:5], -v[29:30]
	v_fma_f64 v[2:3], v[2:3], v[4:5], v[6:7]
	ds_load_b128 v[4:7], v252 offset:6720
	;; [unrolled: 7-line block ×5, first 2 shown]
	s_wait_loadcnt_dscnt 0x0
	v_mul_f64_e32 v[29:30], v[19:20], v[27:28]
	v_mul_f64_e32 v[27:28], v[17:18], v[27:28]
	s_delay_alu instid0(VALU_DEP_2) | instskip(NEXT) | instid1(VALU_DEP_2)
	v_fma_f64 v[17:18], v[17:18], v[25:26], -v[29:30]
	v_fma_f64 v[19:20], v[19:20], v[25:26], v[27:28]
	global_load_b128 v[25:28], v[35:36], off offset:16960
	ds_load_b128 v[29:32], v252 offset:16960
	s_wait_loadcnt_dscnt 0x0
	v_mul_f64_e32 v[33:34], v[31:32], v[27:28]
	v_mul_f64_e32 v[37:38], v[29:30], v[27:28]
	s_delay_alu instid0(VALU_DEP_2) | instskip(NEXT) | instid1(VALU_DEP_2)
	v_fma_f64 v[27:28], v[29:30], v[25:26], -v[33:34]
	v_fma_f64 v[29:30], v[31:32], v[25:26], v[37:38]
	global_load_b128 v[31:34], v[35:36], off offset:19520
	s_wait_loadcnt 0x0
	v_mul_f64_e32 v[25:26], v[214:215], v[33:34]
	v_mul_f64_e32 v[33:34], v[212:213], v[33:34]
	s_delay_alu instid0(VALU_DEP_2) | instskip(NEXT) | instid1(VALU_DEP_2)
	v_fma_f64 v[212:213], v[212:213], v[31:32], -v[25:26]
	v_fma_f64 v[214:215], v[214:215], v[31:32], v[33:34]
	global_load_b128 v[31:34], v[35:36], off offset:22080
	s_wait_loadcnt 0x0
	;; [unrolled: 7-line block ×3, first 2 shown]
	v_mul_f64_e32 v[25:26], v[222:223], v[33:34]
	v_mul_f64_e32 v[33:34], v[220:221], v[33:34]
	s_delay_alu instid0(VALU_DEP_2) | instskip(NEXT) | instid1(VALU_DEP_2)
	v_fma_f64 v[220:221], v[220:221], v[31:32], -v[25:26]
	v_fma_f64 v[222:223], v[222:223], v[31:32], v[33:34]
	ds_store_b128 v252, v[21:24] offset:1600
	ds_store_b128 v252, v[0:3] offset:4160
	;; [unrolled: 1-line block ×10, first 2 shown]
.LBB0_13:
	s_wait_alu 0xfffe
	s_or_b32 exec_lo, exec_lo, s2
	global_wb scope:SCOPE_SE
	s_wait_dscnt 0x0
	s_barrier_signal -1
	s_barrier_wait -1
	global_inv scope:SCOPE_SE
	ds_load_b128 v[216:219], v252
	ds_load_b128 v[212:215], v252 offset:2560
	ds_load_b128 v[244:247], v252 offset:5120
	;; [unrolled: 1-line block ×9, first 2 shown]
	s_and_saveexec_b32 s0, vcc_lo
	s_cbranch_execz .LBB0_15
; %bb.14:
	ds_load_b128 v[172:175], v252 offset:1600
	ds_load_b128 v[180:183], v252 offset:4160
	;; [unrolled: 1-line block ×10, first 2 shown]
.LBB0_15:
	s_wait_alu 0xfffe
	s_or_b32 exec_lo, exec_lo, s0
	s_wait_dscnt 0x7
	v_add_f64_e32 v[0:1], v[216:217], v[244:245]
	s_wait_dscnt 0x6
	v_add_f64_e32 v[37:38], v[212:213], v[228:229]
	v_add_f64_e32 v[2:3], v[218:219], v[246:247]
	;; [unrolled: 1-line block ×3, first 2 shown]
	s_wait_dscnt 0x2
	v_add_f64_e32 v[49:50], v[234:235], v[222:223]
	v_add_f64_e32 v[4:5], v[248:249], v[236:237]
	v_add_f64_e64 v[9:10], v[244:245], -v[248:249]
	s_wait_dscnt 0x1
	v_add_f64_e32 v[23:24], v[244:245], v[240:241]
	v_add_f64_e64 v[29:30], v[240:241], -v[236:237]
	v_add_f64_e32 v[41:42], v[232:233], v[220:221]
	s_wait_dscnt 0x0
	v_add_f64_e32 v[59:60], v[228:229], v[224:225]
	v_add_f64_e64 v[61:62], v[228:229], -v[224:225]
	s_mov_b32 s8, 0x134454ff
	s_mov_b32 s9, 0xbfee6f0e
	;; [unrolled: 1-line block ×3, first 2 shown]
	s_wait_alu 0xfffe
	s_mov_b32 s12, s8
	v_add_f64_e32 v[13:14], v[250:251], v[238:239]
	v_add_f64_e64 v[17:18], v[246:247], -v[250:251]
	v_add_f64_e32 v[27:28], v[246:247], v[242:243]
	v_add_f64_e64 v[33:34], v[242:243], -v[238:239]
	v_add_f64_e64 v[45:46], v[228:229], -v[232:233]
	;; [unrolled: 1-line block ×6, first 2 shown]
	v_add_f64_e32 v[63:64], v[230:231], v[226:227]
	v_add_f64_e64 v[65:66], v[224:225], -v[220:221]
	v_add_f64_e64 v[228:229], v[220:221], -v[224:225]
	s_mov_b32 s0, 0x4755a5e
	s_mov_b32 s1, 0xbfe2cf23
	;; [unrolled: 1-line block ×3, first 2 shown]
	s_wait_alu 0xfffe
	s_mov_b32 s2, s0
	v_add_f64_e64 v[43:44], v[234:235], -v[222:223]
	s_mov_b32 s14, 0x372fe950
	s_mov_b32 s15, 0x3fd3c6ef
	s_mov_b32 s16, 0x9b97f4a8
	s_mov_b32 s17, 0x3fe9e377
	v_add_f64_e64 v[21:22], v[246:247], -v[242:243]
	v_add_f64_e32 v[0:1], v[0:1], v[248:249]
	v_add_f64_e32 v[37:38], v[37:38], v[232:233]
	;; [unrolled: 1-line block ×4, first 2 shown]
	v_fma_f64 v[49:50], v[49:50], -0.5, v[214:215]
	v_fma_f64 v[4:5], v[4:5], -0.5, v[216:217]
	v_add_f64_e64 v[6:7], v[250:251], -v[238:239]
	v_fma_f64 v[23:24], v[23:24], -0.5, v[216:217]
	v_add_f64_e64 v[25:26], v[244:245], -v[240:241]
	v_fma_f64 v[41:42], v[41:42], -0.5, v[212:213]
	v_fma_f64 v[59:60], v[59:60], -0.5, v[212:213]
	v_add_f64_e64 v[15:16], v[248:249], -v[236:237]
	v_add_f64_e64 v[11:12], v[248:249], -v[244:245]
	;; [unrolled: 1-line block ×5, first 2 shown]
	v_fma_f64 v[13:14], v[13:14], -0.5, v[218:219]
	v_add_f64_e64 v[55:56], v[234:235], -v[230:231]
	v_fma_f64 v[27:28], v[27:28], -0.5, v[218:219]
	v_add_f64_e64 v[230:231], v[222:223], -v[226:227]
	s_mov_b32 s19, 0xbfd3c6ef
	s_wait_alu 0xfffe
	s_mov_b32 s18, s14
	s_mov_b32 s21, 0xbfe9e377
	;; [unrolled: 1-line block ×3, first 2 shown]
	global_wb scope:SCOPE_SE
	v_fma_f64 v[63:64], v[63:64], -0.5, v[214:215]
	s_barrier_signal -1
	s_barrier_wait -1
	global_inv scope:SCOPE_SE
	v_add_f64_e32 v[0:1], v[0:1], v[236:237]
	v_add_f64_e32 v[37:38], v[37:38], v[220:221]
	;; [unrolled: 1-line block ×4, first 2 shown]
	v_add_f64_e64 v[220:221], v[226:227], -v[222:223]
	v_add_f64_e32 v[11:12], v[11:12], v[31:32]
	v_add_f64_e32 v[19:20], v[19:20], v[35:36]
	v_fma_f64 v[35:36], v[43:44], s[12:13], v[59:60]
	v_add_f64_e32 v[31:32], v[55:56], v[230:231]
	v_add_f64_e32 v[0:1], v[0:1], v[240:241]
	;; [unrolled: 1-line block ×5, first 2 shown]
	v_fma_f64 v[35:36], v[57:58], s[0:1], v[35:36]
	s_delay_alu instid0(VALU_DEP_4)
	v_add_f64_e32 v[212:213], v[0:1], v[37:38]
	v_add_f64_e64 v[216:217], v[0:1], -v[37:38]
	v_add_f64_e32 v[0:1], v[9:10], v[29:30]
	v_fma_f64 v[29:30], v[61:62], s[12:13], v[49:50]
	v_add_f64_e32 v[214:215], v[2:3], v[39:40]
	v_add_f64_e64 v[218:219], v[2:3], -v[39:40]
	v_add_f64_e32 v[2:3], v[17:18], v[33:34]
	v_add_f64_e32 v[17:18], v[53:54], v[220:221]
	v_fma_f64 v[33:34], v[57:58], s[8:9], v[41:42]
	v_add_f64_e32 v[9:10], v[45:46], v[65:66]
	v_fma_f64 v[39:40], v[25:26], s[12:13], v[13:14]
	v_fma_f64 v[13:14], v[25:26], s[8:9], v[13:14]
	;; [unrolled: 1-line block ×4, first 2 shown]
	s_delay_alu instid0(VALU_DEP_4) | instskip(NEXT) | instid1(VALU_DEP_3)
	v_fma_f64 v[39:40], v[15:16], s[2:3], v[39:40]
	v_fma_f64 v[29:30], v[17:18], s[14:15], v[29:30]
	s_delay_alu instid0(VALU_DEP_3) | instskip(NEXT) | instid1(VALU_DEP_3)
	v_fma_f64 v[33:34], v[9:10], s[14:15], v[33:34]
	v_fma_f64 v[39:40], v[2:3], s[14:15], v[39:40]
	s_delay_alu instid0(VALU_DEP_3) | instskip(NEXT) | instid1(VALU_DEP_1)
	v_mul_f64_e32 v[37:38], s[0:1], v[29:30]
	v_fma_f64 v[37:38], v[33:34], s[16:17], v[37:38]
	v_mul_f64_e32 v[33:34], s[2:3], v[33:34]
	s_delay_alu instid0(VALU_DEP_1) | instskip(SKIP_2) | instid1(VALU_DEP_3)
	v_fma_f64 v[29:30], v[29:30], s[16:17], v[33:34]
	v_fma_f64 v[33:34], v[21:22], s[8:9], v[4:5]
	;; [unrolled: 1-line block ×3, first 2 shown]
	v_add_f64_e32 v[226:227], v[39:40], v[29:30]
	s_delay_alu instid0(VALU_DEP_3)
	v_fma_f64 v[33:34], v[6:7], s[0:1], v[33:34]
	v_add_f64_e64 v[222:223], v[39:40], -v[29:30]
	v_add_f64_e32 v[29:30], v[47:48], v[228:229]
	v_fma_f64 v[39:40], v[15:16], s[8:9], v[27:28]
	v_fma_f64 v[4:5], v[6:7], s[2:3], v[4:5]
	v_fma_f64 v[33:34], v[0:1], s[14:15], v[33:34]
	s_delay_alu instid0(VALU_DEP_4) | instskip(NEXT) | instid1(VALU_DEP_4)
	v_fma_f64 v[35:36], v[29:30], s[14:15], v[35:36]
	v_fma_f64 v[39:40], v[25:26], s[2:3], v[39:40]
	s_delay_alu instid0(VALU_DEP_4) | instskip(NEXT) | instid1(VALU_DEP_4)
	v_fma_f64 v[0:1], v[0:1], s[14:15], v[4:5]
	v_add_f64_e32 v[224:225], v[33:34], v[37:38]
	v_add_f64_e64 v[220:221], v[33:34], -v[37:38]
	v_fma_f64 v[33:34], v[51:52], s[8:9], v[63:64]
	v_fma_f64 v[39:40], v[19:20], s[14:15], v[39:40]
	s_delay_alu instid0(VALU_DEP_2) | instskip(NEXT) | instid1(VALU_DEP_1)
	v_fma_f64 v[33:34], v[61:62], s[2:3], v[33:34]
	v_fma_f64 v[33:34], v[31:32], s[14:15], v[33:34]
	s_delay_alu instid0(VALU_DEP_1) | instskip(SKIP_1) | instid1(VALU_DEP_2)
	v_mul_f64_e32 v[37:38], s[8:9], v[33:34]
	v_mul_f64_e32 v[33:34], s[14:15], v[33:34]
	v_fma_f64 v[37:38], v[35:36], s[14:15], v[37:38]
	s_delay_alu instid0(VALU_DEP_2) | instskip(SKIP_3) | instid1(VALU_DEP_4)
	v_fma_f64 v[33:34], v[35:36], s[12:13], v[33:34]
	v_fma_f64 v[35:36], v[6:7], s[12:13], v[23:24]
	;; [unrolled: 1-line block ×4, first 2 shown]
	v_add_f64_e32 v[234:235], v[39:40], v[33:34]
	s_delay_alu instid0(VALU_DEP_4) | instskip(NEXT) | instid1(VALU_DEP_4)
	v_fma_f64 v[35:36], v[21:22], s[0:1], v[35:36]
	v_fma_f64 v[23:24], v[21:22], s[2:3], v[23:24]
	s_delay_alu instid0(VALU_DEP_4) | instskip(SKIP_1) | instid1(VALU_DEP_4)
	v_fma_f64 v[2:3], v[2:3], s[14:15], v[6:7]
	v_add_f64_e64 v[230:231], v[39:40], -v[33:34]
	v_fma_f64 v[35:36], v[11:12], s[14:15], v[35:36]
	s_delay_alu instid0(VALU_DEP_4) | instskip(SKIP_2) | instid1(VALU_DEP_4)
	v_fma_f64 v[11:12], v[11:12], s[14:15], v[23:24]
	v_fma_f64 v[23:24], v[15:16], s[12:13], v[27:28]
	;; [unrolled: 1-line block ×3, first 2 shown]
	v_add_f64_e32 v[232:233], v[35:36], v[37:38]
	v_add_f64_e64 v[228:229], v[35:36], -v[37:38]
	s_delay_alu instid0(VALU_DEP_4) | instskip(NEXT) | instid1(VALU_DEP_4)
	v_fma_f64 v[23:24], v[25:26], s[0:1], v[23:24]
	v_fma_f64 v[27:28], v[57:58], s[2:3], v[27:28]
	v_add_f64_e64 v[36:37], v[194:195], -v[210:211]
	s_delay_alu instid0(VALU_DEP_3) | instskip(SKIP_1) | instid1(VALU_DEP_4)
	v_fma_f64 v[19:20], v[19:20], s[14:15], v[23:24]
	v_fma_f64 v[23:24], v[51:52], s[12:13], v[63:64]
	;; [unrolled: 1-line block ×3, first 2 shown]
	s_delay_alu instid0(VALU_DEP_2) | instskip(NEXT) | instid1(VALU_DEP_1)
	v_fma_f64 v[23:24], v[61:62], s[0:1], v[23:24]
	v_fma_f64 v[23:24], v[31:32], s[14:15], v[23:24]
	v_add_f64_e64 v[32:33], v[200:201], -v[184:185]
	s_delay_alu instid0(VALU_DEP_2) | instskip(SKIP_2) | instid1(VALU_DEP_2)
	v_mul_f64_e32 v[29:30], s[8:9], v[23:24]
	s_wait_alu 0xfffe
	v_mul_f64_e32 v[23:24], s[18:19], v[23:24]
	v_fma_f64 v[29:30], v[27:28], s[18:19], v[29:30]
	s_delay_alu instid0(VALU_DEP_2) | instskip(NEXT) | instid1(VALU_DEP_2)
	v_fma_f64 v[23:24], v[27:28], s[12:13], v[23:24]
	v_add_f64_e32 v[240:241], v[11:12], v[29:30]
	v_add_f64_e64 v[236:237], v[11:12], -v[29:30]
	v_fma_f64 v[11:12], v[61:62], s[8:9], v[49:50]
	s_delay_alu instid0(VALU_DEP_4)
	v_add_f64_e32 v[242:243], v[19:20], v[23:24]
	v_add_f64_e64 v[238:239], v[19:20], -v[23:24]
	v_fma_f64 v[19:20], v[57:58], s[12:13], v[41:42]
	v_add_f64_e64 v[24:25], v[202:203], -v[186:187]
	v_add_f64_e64 v[28:29], v[188:189], -v[204:205]
	;; [unrolled: 1-line block ×4, first 2 shown]
	v_fma_f64 v[11:12], v[51:52], s[0:1], v[11:12]
	v_fma_f64 v[13:14], v[43:44], s[2:3], v[19:20]
	v_add_f64_e64 v[20:21], v[190:191], -v[206:207]
	v_add_f64_e64 v[44:45], v[192:193], -v[208:209]
	s_delay_alu instid0(VALU_DEP_4) | instskip(NEXT) | instid1(VALU_DEP_4)
	v_fma_f64 v[11:12], v[17:18], s[14:15], v[11:12]
	v_fma_f64 v[4:5], v[9:10], s[14:15], v[13:14]
	s_delay_alu instid0(VALU_DEP_2) | instskip(SKIP_1) | instid1(VALU_DEP_2)
	v_mul_f64_e32 v[6:7], s[0:1], v[11:12]
	v_mul_f64_e32 v[9:10], s[20:21], v[11:12]
	v_fma_f64 v[6:7], v[4:5], s[20:21], v[6:7]
	s_delay_alu instid0(VALU_DEP_2) | instskip(NEXT) | instid1(VALU_DEP_2)
	v_fma_f64 v[4:5], v[4:5], s[2:3], v[9:10]
	v_add_f64_e32 v[248:249], v[0:1], v[6:7]
	s_delay_alu instid0(VALU_DEP_2)
	v_add_f64_e32 v[250:251], v[2:3], v[4:5]
	v_add_f64_e64 v[244:245], v[0:1], -v[6:7]
	v_add_f64_e64 v[246:247], v[2:3], -v[4:5]
	;; [unrolled: 1-line block ×6, first 2 shown]
	ds_store_b128 v8, v[212:215]
	ds_store_b128 v8, v[216:219] offset:80
	ds_store_b128 v8, v[224:227] offset:16
	;; [unrolled: 1-line block ×9, first 2 shown]
	v_add_f64_e32 v[2:3], v[2:3], v[0:1]
	v_add_f64_e64 v[0:1], v[200:201], -v[188:189]
	s_delay_alu instid0(VALU_DEP_1) | instskip(SKIP_1) | instid1(VALU_DEP_1)
	v_add_f64_e32 v[4:5], v[4:5], v[0:1]
	v_add_f64_e64 v[0:1], v[190:191], -v[202:203]
	v_add_f64_e32 v[8:9], v[6:7], v[0:1]
	v_add_f64_e64 v[0:1], v[202:203], -v[190:191]
	v_add_f64_e64 v[6:7], v[186:187], -v[206:207]
	s_delay_alu instid0(VALU_DEP_1) | instskip(SKIP_2) | instid1(VALU_DEP_1)
	v_add_f64_e32 v[10:11], v[6:7], v[0:1]
	v_add_f64_e64 v[0:1], v[192:193], -v[176:177]
	v_add_f64_e64 v[6:7], v[208:209], -v[196:197]
	v_add_f64_e32 v[12:13], v[6:7], v[0:1]
	v_add_f64_e64 v[0:1], v[176:177], -v[192:193]
	v_add_f64_e64 v[6:7], v[196:197], -v[208:209]
	s_delay_alu instid0(VALU_DEP_1) | instskip(SKIP_2) | instid1(VALU_DEP_1)
	v_add_f64_e32 v[14:15], v[6:7], v[0:1]
	v_add_f64_e64 v[0:1], v[194:195], -v[178:179]
	v_add_f64_e64 v[6:7], v[210:211], -v[198:199]
	v_add_f64_e32 v[16:17], v[6:7], v[0:1]
	v_add_f64_e64 v[0:1], v[178:179], -v[194:195]
	v_add_f64_e64 v[6:7], v[198:199], -v[210:211]
	s_delay_alu instid0(VALU_DEP_1) | instskip(SKIP_2) | instid1(VALU_DEP_2)
	v_add_f64_e32 v[18:19], v[6:7], v[0:1]
	v_add_f64_e32 v[0:1], v[184:185], v[200:201]
	;; [unrolled: 1-line block ×3, first 2 shown]
	v_fma_f64 v[0:1], v[0:1], -0.5, v[172:173]
	s_delay_alu instid0(VALU_DEP_2) | instskip(NEXT) | instid1(VALU_DEP_2)
	v_fma_f64 v[6:7], v[6:7], -0.5, v[172:173]
	v_fma_f64 v[22:23], v[20:21], s[8:9], v[0:1]
	v_fma_f64 v[0:1], v[20:21], s[12:13], v[0:1]
	s_delay_alu instid0(VALU_DEP_3) | instskip(SKIP_1) | instid1(VALU_DEP_4)
	v_fma_f64 v[26:27], v[24:25], s[12:13], v[6:7]
	v_fma_f64 v[6:7], v[24:25], s[8:9], v[6:7]
	;; [unrolled: 1-line block ×3, first 2 shown]
	s_delay_alu instid0(VALU_DEP_4)
	v_fma_f64 v[24:25], v[24:25], s[2:3], v[0:1]
	v_add_f64_e32 v[0:1], v[186:187], v[202:203]
	v_fma_f64 v[26:27], v[20:21], s[0:1], v[26:27]
	v_fma_f64 v[20:21], v[20:21], s[2:3], v[6:7]
	v_add_f64_e32 v[6:7], v[206:207], v[190:191]
	v_fma_f64 v[232:233], v[2:3], s[14:15], v[24:25]
	v_fma_f64 v[0:1], v[0:1], -0.5, v[174:175]
	s_delay_alu instid0(VALU_DEP_3) | instskip(NEXT) | instid1(VALU_DEP_2)
	v_fma_f64 v[6:7], v[6:7], -0.5, v[174:175]
	v_fma_f64 v[30:31], v[28:29], s[12:13], v[0:1]
	v_fma_f64 v[0:1], v[28:29], s[8:9], v[0:1]
	s_delay_alu instid0(VALU_DEP_3) | instskip(SKIP_1) | instid1(VALU_DEP_4)
	v_fma_f64 v[34:35], v[32:33], s[8:9], v[6:7]
	v_fma_f64 v[6:7], v[32:33], s[12:13], v[6:7]
	;; [unrolled: 1-line block ×3, first 2 shown]
	s_delay_alu instid0(VALU_DEP_4)
	v_fma_f64 v[32:33], v[32:33], s[0:1], v[0:1]
	v_add_f64_e32 v[0:1], v[176:177], v[196:197]
	v_fma_f64 v[34:35], v[28:29], s[2:3], v[34:35]
	v_fma_f64 v[28:29], v[28:29], s[0:1], v[6:7]
	v_add_f64_e32 v[6:7], v[208:209], v[192:193]
	v_fma_f64 v[244:245], v[8:9], s[14:15], v[32:33]
	v_fma_f64 v[0:1], v[0:1], -0.5, v[180:181]
	v_fma_f64 v[234:235], v[10:11], s[14:15], v[34:35]
	v_fma_f64 v[228:229], v[10:11], s[14:15], v[28:29]
	v_fma_f64 v[6:7], v[6:7], -0.5, v[180:181]
	s_delay_alu instid0(VALU_DEP_4) | instskip(SKIP_1) | instid1(VALU_DEP_3)
	v_fma_f64 v[38:39], v[36:37], s[8:9], v[0:1]
	v_fma_f64 v[0:1], v[36:37], s[12:13], v[0:1]
	;; [unrolled: 1-line block ×4, first 2 shown]
	s_delay_alu instid0(VALU_DEP_4) | instskip(NEXT) | instid1(VALU_DEP_4)
	v_fma_f64 v[38:39], v[40:41], s[0:1], v[38:39]
	v_fma_f64 v[40:41], v[40:41], s[2:3], v[0:1]
	v_add_f64_e32 v[0:1], v[178:179], v[198:199]
	v_fma_f64 v[42:43], v[36:37], s[0:1], v[42:43]
	v_fma_f64 v[36:37], v[36:37], s[2:3], v[6:7]
	v_add_f64_e32 v[6:7], v[210:211], v[194:195]
	v_fma_f64 v[10:11], v[12:13], s[14:15], v[40:41]
	v_fma_f64 v[0:1], v[0:1], -0.5, v[182:183]
	s_delay_alu instid0(VALU_DEP_3) | instskip(NEXT) | instid1(VALU_DEP_2)
	v_fma_f64 v[6:7], v[6:7], -0.5, v[182:183]
	v_fma_f64 v[46:47], v[44:45], s[12:13], v[0:1]
	v_fma_f64 v[0:1], v[44:45], s[8:9], v[0:1]
	s_delay_alu instid0(VALU_DEP_3) | instskip(SKIP_1) | instid1(VALU_DEP_4)
	v_fma_f64 v[50:51], v[48:49], s[8:9], v[6:7]
	v_fma_f64 v[6:7], v[48:49], s[12:13], v[6:7]
	v_fma_f64 v[46:47], v[48:49], s[2:3], v[46:47]
	s_delay_alu instid0(VALU_DEP_4)
	v_fma_f64 v[48:49], v[48:49], s[0:1], v[0:1]
	v_fma_f64 v[0:1], v[2:3], s[14:15], v[22:23]
	v_fma_f64 v[50:51], v[44:45], s[2:3], v[50:51]
	v_fma_f64 v[2:3], v[4:5], s[14:15], v[20:21]
	v_fma_f64 v[44:45], v[44:45], s[0:1], v[6:7]
	v_fma_f64 v[6:7], v[4:5], s[14:15], v[26:27]
	v_fma_f64 v[4:5], v[8:9], s[14:15], v[30:31]
	v_fma_f64 v[8:9], v[12:13], s[14:15], v[38:39]
	v_fma_f64 v[12:13], v[14:15], s[14:15], v[42:43]
	v_fma_f64 v[14:15], v[14:15], s[14:15], v[36:37]
	v_fma_f64 v[20:21], v[16:17], s[14:15], v[46:47]
	v_fma_f64 v[16:17], v[16:17], s[14:15], v[48:49]
	v_fma_f64 v[22:23], v[18:19], s[14:15], v[50:51]
	v_fma_f64 v[18:19], v[18:19], s[14:15], v[44:45]
	s_delay_alu instid0(VALU_DEP_4) | instskip(SKIP_1) | instid1(VALU_DEP_2)
	v_mul_f64_e32 v[24:25], s[0:1], v[20:21]
	v_mul_f64_e32 v[20:21], s[16:17], v[20:21]
	v_fma_f64 v[230:231], v[8:9], s[16:17], v[24:25]
	s_delay_alu instid0(VALU_DEP_2) | instskip(SKIP_2) | instid1(VALU_DEP_4)
	v_fma_f64 v[236:237], v[8:9], s[2:3], v[20:21]
	v_mul_f64_e32 v[8:9], s[8:9], v[22:23]
	v_mul_f64_e32 v[20:21], s[14:15], v[22:23]
	v_add_f64_e64 v[212:213], v[0:1], -v[230:231]
	s_delay_alu instid0(VALU_DEP_4) | instskip(NEXT) | instid1(VALU_DEP_4)
	v_add_f64_e64 v[214:215], v[4:5], -v[236:237]
	v_fma_f64 v[238:239], v[12:13], s[14:15], v[8:9]
	s_delay_alu instid0(VALU_DEP_4) | instskip(SKIP_2) | instid1(VALU_DEP_4)
	v_fma_f64 v[246:247], v[12:13], s[12:13], v[20:21]
	v_mul_f64_e32 v[8:9], s[8:9], v[18:19]
	v_mul_f64_e32 v[12:13], s[18:19], v[18:19]
	v_add_f64_e64 v[220:221], v[6:7], -v[238:239]
	s_delay_alu instid0(VALU_DEP_4) | instskip(NEXT) | instid1(VALU_DEP_4)
	v_add_f64_e64 v[222:223], v[234:235], -v[246:247]
	v_fma_f64 v[240:241], v[14:15], s[18:19], v[8:9]
	s_delay_alu instid0(VALU_DEP_4) | instskip(SKIP_2) | instid1(VALU_DEP_4)
	v_fma_f64 v[242:243], v[14:15], s[12:13], v[12:13]
	v_mul_f64_e32 v[8:9], s[0:1], v[16:17]
	v_mul_f64_e32 v[12:13], s[20:21], v[16:17]
	v_add_f64_e64 v[216:217], v[2:3], -v[240:241]
	s_delay_alu instid0(VALU_DEP_4) | instskip(NEXT) | instid1(VALU_DEP_4)
	v_add_f64_e64 v[218:219], v[228:229], -v[242:243]
	v_fma_f64 v[248:249], v[10:11], s[20:21], v[8:9]
	s_delay_alu instid0(VALU_DEP_4) | instskip(NEXT) | instid1(VALU_DEP_2)
	v_fma_f64 v[250:251], v[10:11], s[2:3], v[12:13]
	v_add_f64_e64 v[224:225], v[232:233], -v[248:249]
	s_delay_alu instid0(VALU_DEP_2)
	v_add_f64_e64 v[226:227], v[244:245], -v[250:251]
	s_and_saveexec_b32 s0, vcc_lo
	s_cbranch_execz .LBB0_17
; %bb.16:
	v_add_f64_e32 v[8:9], v[190:191], v[174:175]
	v_add_f64_e32 v[10:11], v[188:189], v[172:173]
	;; [unrolled: 1-line block ×12, first 2 shown]
	s_delay_alu instid0(VALU_DEP_4) | instskip(NEXT) | instid1(VALU_DEP_4)
	v_add_f64_e32 v[8:9], v[186:187], v[8:9]
	v_add_f64_e32 v[10:11], v[184:185], v[10:11]
	s_delay_alu instid0(VALU_DEP_4) | instskip(NEXT) | instid1(VALU_DEP_4)
	v_add_f64_e32 v[12:13], v[198:199], v[12:13]
	v_add_f64_e32 v[14:15], v[196:197], v[14:15]
	;; [unrolled: 3-line block ×4, first 2 shown]
	v_add_f64_e32 v[12:13], v[6:7], v[238:239]
	v_add_f64_e32 v[14:15], v[234:235], v[246:247]
	;; [unrolled: 1-line block ×6, first 2 shown]
	v_add_f64_e64 v[22:23], v[20:21], -v[22:23]
	v_add_f64_e64 v[20:21], v[24:25], -v[26:27]
	s_clause 0x1
	scratch_load_b32 v24, off, off offset:180 th:TH_LOAD_LU
	scratch_load_b32 v25, off, off offset:296 th:TH_LOAD_LU
	s_wait_loadcnt 0x0
	v_lshl_add_u32 v24, v25, 4, v24
	ds_store_b128 v24, v[12:15] offset:32
	ds_store_b128 v24, v[212:215] offset:96
	;; [unrolled: 1-line block ×7, first 2 shown]
	ds_store_b128 v24, v[4:7]
	ds_store_b128 v24, v[20:23] offset:80
	ds_store_b128 v24, v[224:227] offset:144
.LBB0_17:
	s_wait_alu 0xfffe
	s_or_b32 exec_lo, exec_lo, s0
	global_wb scope:SCOPE_SE
	s_wait_dscnt 0x0
	s_barrier_signal -1
	s_barrier_wait -1
	global_inv scope:SCOPE_SE
	ds_load_b128 v[0:3], v252 offset:1600
	s_mov_b32 s0, 0x667f3bcd
	s_mov_b32 s1, 0xbfe6a09e
	s_mov_b32 s3, 0x3fe6a09e
	s_wait_alu 0xfffe
	s_mov_b32 s2, s0
	s_mov_b32 s8, 0xcf328d46
	s_mov_b32 s9, 0xbfed906b
	s_mov_b32 s17, 0x3fed906b
	s_wait_alu 0xfffe
	s_mov_b32 s16, s8
	;; [unrolled: 5-line block ×3, first 2 shown]
	s_wait_dscnt 0x0
	v_mul_f64_e32 v[4:5], v[90:91], v[2:3]
	s_delay_alu instid0(VALU_DEP_1) | instskip(SKIP_1) | instid1(VALU_DEP_1)
	v_fma_f64 v[4:5], v[88:89], v[0:1], v[4:5]
	v_mul_f64_e32 v[0:1], v[90:91], v[0:1]
	v_fma_f64 v[6:7], v[88:89], v[2:3], -v[0:1]
	ds_load_b128 v[0:3], v252 offset:3200
	s_wait_dscnt 0x0
	v_mul_f64_e32 v[8:9], v[86:87], v[2:3]
	s_delay_alu instid0(VALU_DEP_1) | instskip(SKIP_1) | instid1(VALU_DEP_1)
	v_fma_f64 v[8:9], v[84:85], v[0:1], v[8:9]
	v_mul_f64_e32 v[0:1], v[86:87], v[0:1]
	v_fma_f64 v[10:11], v[84:85], v[2:3], -v[0:1]
	ds_load_b128 v[0:3], v252 offset:4800
	;; [unrolled: 7-line block ×14, first 2 shown]
	s_wait_dscnt 0x0
	v_mul_f64_e32 v[60:61], v[118:119], v[0:1]
	s_delay_alu instid0(VALU_DEP_1) | instskip(SKIP_1) | instid1(VALU_DEP_1)
	v_fma_f64 v[60:61], v[116:117], v[2:3], -v[60:61]
	v_mul_f64_e32 v[2:3], v[118:119], v[2:3]
	v_fma_f64 v[62:63], v[116:117], v[0:1], v[2:3]
	ds_load_b128 v[0:3], v252
	global_wb scope:SCOPE_SE
	s_wait_dscnt 0x0
	s_barrier_signal -1
	s_barrier_wait -1
	global_inv scope:SCOPE_SE
	v_add_f64_e64 v[32:33], v[0:1], -v[32:33]
	v_add_f64_e64 v[34:35], v[2:3], -v[34:35]
	s_delay_alu instid0(VALU_DEP_2) | instskip(NEXT) | instid1(VALU_DEP_2)
	v_fma_f64 v[64:65], v[0:1], 2.0, -v[32:33]
	v_fma_f64 v[66:67], v[2:3], 2.0, -v[34:35]
	v_add_f64_e64 v[0:1], v[16:17], -v[36:37]
	v_add_f64_e64 v[2:3], v[18:19], -v[38:39]
	;; [unrolled: 1-line block ×14, first 2 shown]
	v_fma_f64 v[16:17], v[16:17], 2.0, -v[0:1]
	v_fma_f64 v[18:19], v[18:19], 2.0, -v[2:3]
	;; [unrolled: 1-line block ×14, first 2 shown]
	v_add_f64_e32 v[2:3], v[32:33], v[2:3]
	v_add_f64_e32 v[42:43], v[36:37], v[42:43]
	v_add_f64_e64 v[0:1], v[34:35], -v[0:1]
	v_add_f64_e64 v[40:41], v[38:39], -v[40:41]
	v_add_f64_e32 v[50:51], v[44:45], v[50:51]
	v_add_f64_e64 v[48:49], v[46:47], -v[48:49]
	v_add_f64_e32 v[56:57], v[52:53], v[56:57]
	v_add_f64_e64 v[58:59], v[54:55], -v[58:59]
	v_add_f64_e64 v[16:17], v[64:65], -v[16:17]
	v_add_f64_e64 v[18:19], v[66:67], -v[18:19]
	v_add_f64_e64 v[24:25], v[8:9], -v[24:25]
	v_add_f64_e64 v[26:27], v[10:11], -v[26:27]
	v_add_f64_e64 v[28:29], v[60:61], -v[4:5]
	v_add_f64_e64 v[30:31], v[62:63], -v[6:7]
	v_add_f64_e64 v[22:23], v[12:13], -v[22:23]
	v_add_f64_e64 v[20:21], v[14:15], -v[20:21]
	v_fma_f64 v[44:45], v[44:45], 2.0, -v[50:51]
	v_add_f64_e64 v[6:7], v[18:19], -v[24:25]
	v_add_f64_e32 v[4:5], v[16:17], v[26:27]
	v_add_f64_e64 v[78:79], v[30:31], -v[22:23]
	v_add_f64_e32 v[76:77], v[28:29], v[20:21]
	v_fma_f64 v[14:15], v[14:15], 2.0, -v[20:21]
	v_fma_f64 v[12:13], v[12:13], 2.0, -v[22:23]
	;; [unrolled: 1-line block ×6, first 2 shown]
	v_fma_f64 v[82:83], v[78:79], s[2:3], v[6:7]
	v_fma_f64 v[80:81], v[76:77], s[2:3], v[4:5]
	v_fma_f64 v[84:85], v[28:29], 2.0, -v[76:77]
	s_delay_alu instid0(VALU_DEP_3) | instskip(SKIP_1) | instid1(VALU_DEP_4)
	v_fma_f64 v[82:83], v[76:77], s[0:1], v[82:83]
	v_fma_f64 v[76:77], v[30:31], 2.0, -v[78:79]
	v_fma_f64 v[80:81], v[78:79], s[2:3], v[80:81]
	s_delay_alu instid0(VALU_DEP_4) | instskip(NEXT) | instid1(VALU_DEP_4)
	v_fma_f64 v[78:79], v[84:85], s[0:1], v[100:101]
	v_fma_f64 v[6:7], v[6:7], 2.0, -v[82:83]
	s_delay_alu instid0(VALU_DEP_4) | instskip(NEXT) | instid1(VALU_DEP_4)
	v_fma_f64 v[86:87], v[76:77], s[0:1], v[102:103]
	v_fma_f64 v[4:5], v[4:5], 2.0, -v[80:81]
	s_delay_alu instid0(VALU_DEP_4) | instskip(NEXT) | instid1(VALU_DEP_3)
	v_fma_f64 v[76:77], v[76:77], s[2:3], v[78:79]
	v_fma_f64 v[78:79], v[84:85], s[0:1], v[86:87]
	;; [unrolled: 1-line block ×4, first 2 shown]
	ds_store_b128 v255, v[4:7] offset:960
	v_fma_f64 v[96:97], v[40:41], s[2:3], v[84:85]
	v_fma_f64 v[84:85], v[40:41], s[2:3], v[0:1]
	;; [unrolled: 1-line block ×3, first 2 shown]
	s_delay_alu instid0(VALU_DEP_3) | instskip(NEXT) | instid1(VALU_DEP_3)
	v_fma_f64 v[104:105], v[2:3], 2.0, -v[96:97]
	v_fma_f64 v[98:99], v[42:43], s[0:1], v[84:85]
	v_fma_f64 v[84:85], v[56:57], s[2:3], v[50:51]
	v_fma_f64 v[2:3], v[32:33], 2.0, -v[2:3]
	v_fma_f64 v[32:33], v[36:37], 2.0, -v[42:43]
	;; [unrolled: 1-line block ×3, first 2 shown]
	v_fma_f64 v[90:91], v[86:87], s[16:17], v[98:99]
	v_fma_f64 v[84:85], v[58:59], s[2:3], v[84:85]
	v_fma_f64 v[106:107], v[0:1], 2.0, -v[98:99]
	v_fma_f64 v[0:1], v[34:35], 2.0, -v[0:1]
	;; [unrolled: 1-line block ×4, first 2 shown]
	v_fma_f64 v[88:89], v[84:85], s[16:17], v[96:97]
	s_wait_alu 0xfffe
	v_fma_f64 v[90:91], v[84:85], s[14:15], v[90:91]
	v_fma_f64 v[92:93], v[50:51], 2.0, -v[84:85]
	v_fma_f64 v[50:51], v[52:53], 2.0, -v[56:57]
	v_fma_f64 v[42:43], v[34:35], s[0:1], v[0:1]
	v_fma_f64 v[84:85], v[48:49], 2.0, -v[86:87]
	v_fma_f64 v[88:89], v[86:87], s[12:13], v[88:89]
	v_fma_f64 v[6:7], v[98:99], 2.0, -v[90:91]
	v_fma_f64 v[86:87], v[92:93], s[14:15], v[104:105]
	v_fma_f64 v[40:41], v[50:51], s[0:1], v[44:45]
	v_fma_f64 v[42:43], v[32:33], s[0:1], v[42:43]
	;; [unrolled: 1-line block ×4, first 2 shown]
	v_fma_f64 v[4:5], v[96:97], 2.0, -v[88:89]
	v_fma_f64 v[84:85], v[84:85], s[16:17], v[86:87]
	v_fma_f64 v[40:41], v[38:39], s[2:3], v[40:41]
	v_fma_f64 v[38:39], v[38:39], s[0:1], v[36:37]
	v_fma_f64 v[32:33], v[34:35], s[2:3], v[32:33]
	v_fma_f64 v[86:87], v[92:93], s[8:9], v[94:95]
	ds_store_b128 v255, v[4:7] offset:1120
	v_fma_f64 v[4:5], v[8:9], 2.0, -v[24:25]
	v_fma_f64 v[6:7], v[10:11], 2.0, -v[26:27]
	;; [unrolled: 1-line block ×4, first 2 shown]
	v_fma_f64 v[38:39], v[50:51], s[0:1], v[38:39]
	v_fma_f64 v[34:35], v[44:45], 2.0, -v[40:41]
	v_fma_f64 v[46:47], v[40:41], s[12:13], v[32:33]
	v_add_f64_e64 v[20:21], v[16:17], -v[4:5]
	v_add_f64_e64 v[22:23], v[18:19], -v[6:7]
	;; [unrolled: 1-line block ×4, first 2 shown]
	v_fma_f64 v[44:45], v[38:39], s[12:13], v[42:43]
	v_fma_f64 v[36:37], v[36:37], 2.0, -v[38:39]
	v_fma_f64 v[92:93], v[38:39], s[16:17], v[46:47]
	v_fma_f64 v[38:39], v[2:3], 2.0, -v[32:33]
	v_fma_f64 v[16:17], v[16:17], 2.0, -v[20:21]
	v_fma_f64 v[18:19], v[18:19], 2.0, -v[22:23]
	v_add_f64_e64 v[98:99], v[22:23], -v[12:13]
	v_add_f64_e32 v[96:97], v[20:21], v[14:15]
	v_fma_f64 v[94:95], v[40:41], s[8:9], v[44:45]
	v_fma_f64 v[40:41], v[0:1], 2.0, -v[42:43]
	v_fma_f64 v[0:1], v[34:35], s[8:9], v[38:39]
	v_fma_f64 v[6:7], v[22:23], 2.0, -v[98:99]
	v_fma_f64 v[4:5], v[20:21], 2.0, -v[96:97]
	s_delay_alu instid0(VALU_DEP_4) | instskip(NEXT) | instid1(VALU_DEP_4)
	v_fma_f64 v[2:3], v[36:37], s[8:9], v[40:41]
	v_fma_f64 v[0:1], v[36:37], s[12:13], v[0:1]
	ds_store_b128 v255, v[4:7] offset:640
	v_fma_f64 v[4:5], v[8:9], 2.0, -v[12:13]
	v_fma_f64 v[6:7], v[10:11], 2.0, -v[14:15]
	v_fma_f64 v[2:3], v[34:35], s[14:15], v[2:3]
	s_delay_alu instid0(VALU_DEP_3) | instskip(NEXT) | instid1(VALU_DEP_3)
	v_add_f64_e64 v[4:5], v[16:17], -v[4:5]
	v_add_f64_e64 v[6:7], v[18:19], -v[6:7]
	s_delay_alu instid0(VALU_DEP_2) | instskip(NEXT) | instid1(VALU_DEP_2)
	v_fma_f64 v[8:9], v[16:17], 2.0, -v[4:5]
	v_fma_f64 v[10:11], v[18:19], 2.0, -v[6:7]
	ds_store_b128 v255, v[4:7] offset:1280
	v_fma_f64 v[4:5], v[100:101], 2.0, -v[76:77]
	v_fma_f64 v[6:7], v[102:103], 2.0, -v[78:79]
	ds_store_b128 v255, v[4:7] offset:320
	;; [unrolled: 3-line block ×5, first 2 shown]
	ds_store_b128 v255, v[80:83] offset:2240
	ds_store_b128 v255, v[88:91] offset:2400
	;; [unrolled: 1-line block ×6, first 2 shown]
	ds_store_b128 v255, v[8:11]
	ds_store_b128 v255, v[4:7] offset:160
	global_wb scope:SCOPE_SE
	s_wait_dscnt 0x0
	s_barrier_signal -1
	s_barrier_wait -1
	global_inv scope:SCOPE_SE
	ds_load_b128 v[100:103], v252
	ds_load_b128 v[104:107], v252 offset:2560
	ds_load_b128 v[112:115], v252 offset:5120
	;; [unrolled: 1-line block ×9, first 2 shown]
	s_and_saveexec_b32 s0, vcc_lo
	s_cbranch_execz .LBB0_19
; %bb.18:
	ds_load_b128 v[76:79], v252 offset:1600
	ds_load_b128 v[84:87], v252 offset:4160
	;; [unrolled: 1-line block ×10, first 2 shown]
.LBB0_19:
	s_wait_alu 0xfffe
	s_or_b32 exec_lo, exec_lo, s0
	s_wait_dscnt 0x4
	v_mul_f64_e32 v[2:3], v[162:163], v[128:129]
	s_wait_dscnt 0x2
	v_mul_f64_e32 v[4:5], v[166:167], v[132:133]
	v_mul_f64_e32 v[0:1], v[138:139], v[124:125]
	s_wait_dscnt 0x0
	v_mul_f64_e32 v[6:7], v[170:171], v[172:173]
	v_mul_f64_e32 v[8:9], v[158:159], v[104:105]
	;; [unrolled: 1-line block ×15, first 2 shown]
	s_mov_b32 s2, 0x134454ff
	s_mov_b32 s3, 0xbfee6f0e
	;; [unrolled: 1-line block ×3, first 2 shown]
	s_wait_alu 0xfffe
	s_mov_b32 s0, s2
	s_mov_b32 s12, 0x4755a5e
	;; [unrolled: 1-line block ×4, first 2 shown]
	s_wait_alu 0xfffe
	s_mov_b32 s8, s12
	s_mov_b32 s14, 0x372fe950
	;; [unrolled: 1-line block ×5, first 2 shown]
	s_wait_alu 0xfffe
	s_mov_b32 s18, s14
	s_mov_b32 s20, s16
	v_fma_f64 v[2:3], v[160:161], v[130:131], -v[2:3]
	v_fma_f64 v[4:5], v[164:165], v[134:135], -v[4:5]
	v_fma_f64 v[0:1], v[136:137], v[126:127], -v[0:1]
	v_fma_f64 v[6:7], v[168:169], v[174:175], -v[6:7]
	v_fma_f64 v[8:9], v[156:157], v[106:107], -v[8:9]
	v_fma_f64 v[10:11], v[136:137], v[124:125], v[10:11]
	v_fma_f64 v[12:13], v[160:161], v[128:129], v[12:13]
	;; [unrolled: 1-line block ×4, first 2 shown]
	v_fma_f64 v[20:21], v[140:141], v[114:115], -v[20:21]
	v_fma_f64 v[22:23], v[144:145], v[116:117], v[22:23]
	v_fma_f64 v[24:25], v[144:145], v[118:119], -v[24:25]
	v_fma_f64 v[26:27], v[148:149], v[108:109], v[26:27]
	v_fma_f64 v[30:31], v[148:149], v[110:111], -v[30:31]
	v_fma_f64 v[32:33], v[152:153], v[122:123], -v[32:33]
	v_fma_f64 v[34:35], v[156:157], v[104:105], v[34:35]
	v_fma_f64 v[18:19], v[140:141], v[112:113], v[18:19]
	;; [unrolled: 1-line block ×3, first 2 shown]
	v_add_f64_e32 v[36:37], v[2:3], v[4:5]
	v_add_f64_e64 v[58:59], v[0:1], -v[2:3]
	v_add_f64_e32 v[38:39], v[0:1], v[6:7]
	v_add_f64_e64 v[56:57], v[0:1], -v[6:7]
	v_add_f64_e64 v[60:61], v[6:7], -v[4:5]
	;; [unrolled: 1-line block ×3, first 2 shown]
	v_add_f64_e32 v[40:41], v[12:13], v[14:15]
	v_add_f64_e32 v[42:43], v[10:11], v[16:17]
	v_add_f64_e64 v[44:45], v[10:11], -v[16:17]
	v_add_f64_e64 v[46:47], v[12:13], -v[14:15]
	;; [unrolled: 1-line block ×3, first 2 shown]
	v_add_f64_e32 v[48:49], v[22:23], v[26:27]
	v_add_f64_e32 v[52:53], v[24:25], v[30:31]
	;; [unrolled: 1-line block ×3, first 2 shown]
	v_add_f64_e64 v[66:67], v[2:3], -v[4:5]
	v_add_f64_e32 v[108:109], v[100:101], v[18:19]
	v_add_f64_e32 v[50:51], v[18:19], v[28:29]
	;; [unrolled: 1-line block ×4, first 2 shown]
	v_add_f64_e64 v[110:111], v[20:21], -v[32:33]
	v_add_f64_e64 v[116:117], v[10:11], -v[12:13]
	;; [unrolled: 1-line block ×9, first 2 shown]
	v_fma_f64 v[36:37], v[36:37], -0.5, v[8:9]
	v_fma_f64 v[38:39], v[38:39], -0.5, v[8:9]
	v_add_f64_e32 v[58:59], v[58:59], v[60:61]
	v_fma_f64 v[40:41], v[40:41], -0.5, v[34:35]
	v_fma_f64 v[42:43], v[42:43], -0.5, v[34:35]
	v_add_f64_e32 v[34:35], v[34:35], v[10:11]
	v_add_f64_e64 v[10:11], v[12:13], -v[10:11]
	v_add_f64_e32 v[60:61], v[62:63], v[64:65]
	v_fma_f64 v[8:9], v[48:49], -0.5, v[100:101]
	v_add_f64_e64 v[48:49], v[18:19], -v[28:29]
	v_fma_f64 v[52:53], v[52:53], -0.5, v[102:103]
	v_fma_f64 v[54:55], v[54:55], -0.5, v[102:103]
	;; [unrolled: 1-line block ×3, first 2 shown]
	v_add_f64_e64 v[100:101], v[22:23], -v[26:27]
	v_add_f64_e32 v[24:25], v[114:115], v[24:25]
	v_add_f64_e32 v[0:1], v[0:1], v[2:3]
	;; [unrolled: 1-line block ×3, first 2 shown]
	v_fma_f64 v[104:105], v[44:45], s[0:1], v[36:37]
	v_fma_f64 v[36:37], v[44:45], s[2:3], v[36:37]
	;; [unrolled: 1-line block ×8, first 2 shown]
	v_add_f64_e32 v[12:13], v[34:35], v[12:13]
	v_add_f64_e32 v[34:35], v[116:117], v[118:119]
	;; [unrolled: 1-line block ×3, first 2 shown]
	v_fma_f64 v[2:3], v[110:111], s[2:3], v[8:9]
	v_fma_f64 v[114:115], v[48:49], s[0:1], v[52:53]
	;; [unrolled: 1-line block ×6, first 2 shown]
	v_add_f64_e32 v[24:25], v[24:25], v[30:31]
	v_add_f64_e32 v[0:1], v[0:1], v[4:5]
	v_fma_f64 v[102:103], v[46:47], s[8:9], v[104:105]
	v_fma_f64 v[36:37], v[46:47], s[12:13], v[36:37]
	;; [unrolled: 1-line block ×4, first 2 shown]
	v_add_f64_e64 v[44:45], v[18:19], -v[22:23]
	v_add_f64_e64 v[18:19], v[22:23], -v[18:19]
	v_add_f64_e32 v[22:23], v[108:109], v[22:23]
	v_add_f64_e64 v[46:47], v[28:29], -v[26:27]
	v_fma_f64 v[62:63], v[66:67], s[12:13], v[62:63]
	v_fma_f64 v[40:41], v[66:67], s[8:9], v[40:41]
	;; [unrolled: 1-line block ×4, first 2 shown]
	v_add_f64_e64 v[106:107], v[26:27], -v[28:29]
	v_fma_f64 v[108:109], v[112:113], s[0:1], v[50:51]
	v_fma_f64 v[50:51], v[112:113], s[2:3], v[50:51]
	v_add_f64_e32 v[12:13], v[12:13], v[14:15]
	v_fma_f64 v[2:3], v[112:113], s[12:13], v[2:3]
	v_fma_f64 v[30:31], v[100:101], s[12:13], v[52:53]
	;; [unrolled: 1-line block ×3, first 2 shown]
	v_add_f64_e32 v[24:25], v[24:25], v[32:33]
	v_add_f64_e32 v[6:7], v[0:1], v[6:7]
	v_fma_f64 v[56:57], v[58:59], s[14:15], v[102:103]
	v_fma_f64 v[36:37], v[58:59], s[14:15], v[36:37]
	;; [unrolled: 1-line block ×4, first 2 shown]
	v_add_f64_e32 v[22:23], v[22:23], v[26:27]
	v_add_f64_e32 v[44:45], v[44:45], v[46:47]
	;; [unrolled: 1-line block ×3, first 2 shown]
	v_fma_f64 v[26:27], v[100:101], s[8:9], v[114:115]
	v_fma_f64 v[52:53], v[34:35], s[14:15], v[62:63]
	;; [unrolled: 1-line block ×5, first 2 shown]
	v_add_f64_e32 v[18:19], v[18:19], v[106:107]
	v_fma_f64 v[8:9], v[110:111], s[12:13], v[108:109]
	v_fma_f64 v[14:15], v[110:111], s[8:9], v[50:51]
	v_fma_f64 v[50:51], v[48:49], s[8:9], v[116:117]
	v_fma_f64 v[48:49], v[48:49], s[12:13], v[54:55]
	v_add_f64_e32 v[12:13], v[12:13], v[16:17]
	v_mul_f64_e32 v[42:43], s[12:13], v[56:57]
	v_mul_f64_e32 v[56:57], s[16:17], v[56:57]
	;; [unrolled: 1-line block ×5, first 2 shown]
	s_wait_alu 0xfffe
	v_mul_f64_e32 v[38:39], s[18:19], v[38:39]
	v_mul_f64_e32 v[60:61], s[12:13], v[36:37]
	;; [unrolled: 1-line block ×3, first 2 shown]
	v_add_f64_e32 v[22:23], v[22:23], v[28:29]
	v_fma_f64 v[28:29], v[44:45], s[14:15], v[2:3]
	v_fma_f64 v[26:27], v[46:47], s[14:15], v[26:27]
	;; [unrolled: 1-line block ×4, first 2 shown]
	v_add_f64_e32 v[2:3], v[24:25], v[6:7]
	v_add_f64_e64 v[6:7], v[24:25], -v[6:7]
	v_fma_f64 v[32:33], v[18:19], s[14:15], v[8:9]
	v_fma_f64 v[64:65], v[18:19], s[14:15], v[14:15]
	;; [unrolled: 1-line block ×12, first 2 shown]
	v_add_f64_e32 v[0:1], v[22:23], v[12:13]
	v_add_f64_e64 v[4:5], v[22:23], -v[12:13]
	v_add_f64_e32 v[8:9], v[28:29], v[42:43]
	v_add_f64_e32 v[10:11], v[26:27], v[52:53]
	;; [unrolled: 1-line block ×8, first 2 shown]
	v_add_f64_e64 v[24:25], v[28:29], -v[42:43]
	v_add_f64_e64 v[26:27], v[26:27], -v[52:53]
	;; [unrolled: 1-line block ×8, first 2 shown]
	ds_store_b128 v252, v[0:3]
	ds_store_b128 v252, v[8:11] offset:2560
	ds_store_b128 v252, v[12:15] offset:5120
	;; [unrolled: 1-line block ×9, first 2 shown]
	s_and_saveexec_b32 s22, vcc_lo
	s_cbranch_execz .LBB0_21
; %bb.20:
	s_clause 0x6
	scratch_load_b128 v[36:39], off, off offset:264 th:TH_LOAD_LU
	scratch_load_b128 v[56:59], off, off offset:248 th:TH_LOAD_LU
	;; [unrolled: 1-line block ×7, first 2 shown]
	v_mul_f64_e32 v[2:3], v[70:71], v[88:89]
	v_mul_f64_e32 v[4:5], v[74:75], v[220:221]
	;; [unrolled: 1-line block ×4, first 2 shown]
	s_delay_alu instid0(VALU_DEP_4) | instskip(NEXT) | instid1(VALU_DEP_4)
	v_fma_f64 v[2:3], v[68:69], v[90:91], -v[2:3]
	v_fma_f64 v[4:5], v[72:73], v[222:223], -v[4:5]
	s_delay_alu instid0(VALU_DEP_4) | instskip(NEXT) | instid1(VALU_DEP_4)
	v_fma_f64 v[10:11], v[68:69], v[88:89], v[10:11]
	v_fma_f64 v[14:15], v[72:73], v[220:221], v[14:15]
	s_wait_loadcnt 0x6
	v_mul_f64_e32 v[0:1], v[38:39], v[92:93]
	v_mul_f64_e32 v[8:9], v[38:39], v[94:95]
	s_wait_loadcnt 0x4
	v_mul_f64_e32 v[6:7], v[62:63], v[224:225]
	v_mul_f64_e32 v[12:13], v[62:63], v[226:227]
	s_wait_loadcnt 0x3
	v_mul_f64_e32 v[16:17], v[42:43], v[84:85]
	s_wait_loadcnt 0x2
	v_mul_f64_e32 v[18:19], v[46:47], v[96:97]
	s_wait_loadcnt 0x1
	v_mul_f64_e32 v[20:21], v[50:51], v[80:81]
	s_wait_loadcnt 0x0
	v_mul_f64_e32 v[22:23], v[54:55], v[212:213]
	v_mul_f64_e32 v[24:25], v[58:59], v[216:217]
	;; [unrolled: 1-line block ×7, first 2 shown]
	v_add_f64_e64 v[46:47], v[10:11], -v[14:15]
	v_fma_f64 v[0:1], v[36:37], v[94:95], -v[0:1]
	v_fma_f64 v[8:9], v[36:37], v[92:93], v[8:9]
	v_fma_f64 v[6:7], v[60:61], v[226:227], -v[6:7]
	v_fma_f64 v[12:13], v[60:61], v[224:225], v[12:13]
	v_fma_f64 v[16:17], v[40:41], v[86:87], -v[16:17]
	v_add_f64_e32 v[36:37], v[2:3], v[4:5]
	v_fma_f64 v[20:21], v[48:49], v[82:83], -v[20:21]
	v_fma_f64 v[22:23], v[52:53], v[214:215], -v[22:23]
	;; [unrolled: 1-line block ×4, first 2 shown]
	v_fma_f64 v[26:27], v[44:45], v[96:97], v[26:27]
	v_fma_f64 v[28:29], v[56:57], v[216:217], v[28:29]
	v_fma_f64 v[30:31], v[48:49], v[80:81], v[30:31]
	v_fma_f64 v[32:33], v[52:53], v[212:213], v[32:33]
	v_fma_f64 v[34:35], v[40:41], v[84:85], v[34:35]
	v_add_f64_e32 v[40:41], v[10:11], v[14:15]
	v_add_f64_e64 v[52:53], v[2:3], -v[4:5]
	v_add_f64_e64 v[54:55], v[0:1], -v[2:3]
	;; [unrolled: 1-line block ×3, first 2 shown]
	v_add_f64_e32 v[38:39], v[6:7], v[0:1]
	v_add_f64_e64 v[42:43], v[8:9], -v[12:13]
	v_add_f64_e32 v[44:45], v[12:13], v[8:9]
	v_fma_f64 v[36:37], v[36:37], -0.5, v[16:17]
	v_add_f64_e64 v[50:51], v[0:1], -v[6:7]
	v_add_f64_e32 v[48:49], v[22:23], v[20:21]
	v_add_f64_e64 v[56:57], v[6:7], -v[4:5]
	v_add_f64_e32 v[58:59], v[24:25], v[18:19]
	;; [unrolled: 2-line block ×4, first 2 shown]
	v_add_f64_e64 v[84:85], v[10:11], -v[8:9]
	v_fma_f64 v[40:41], v[40:41], -0.5, v[34:35]
	v_add_f64_e32 v[88:89], v[18:19], v[78:79]
	v_add_f64_e32 v[0:1], v[0:1], v[16:17]
	;; [unrolled: 1-line block ×4, first 2 shown]
	v_add_f64_e64 v[72:73], v[26:27], -v[28:29]
	v_add_f64_e64 v[74:75], v[30:31], -v[32:33]
	;; [unrolled: 1-line block ×6, first 2 shown]
	v_fma_f64 v[38:39], v[38:39], -0.5, v[16:17]
	v_add_f64_e64 v[16:17], v[18:19], -v[24:25]
	v_fma_f64 v[44:45], v[44:45], -0.5, v[34:35]
	v_fma_f64 v[68:69], v[42:43], s[2:3], v[36:37]
	v_fma_f64 v[36:37], v[42:43], s[0:1], v[36:37]
	v_fma_f64 v[34:35], v[48:49], -0.5, v[78:79]
	v_add_f64_e32 v[54:55], v[56:57], v[54:55]
	v_fma_f64 v[48:49], v[58:59], -0.5, v[78:79]
	v_add_f64_e32 v[56:57], v[62:63], v[60:61]
	v_fma_f64 v[60:61], v[66:67], -0.5, v[76:77]
	v_add_f64_e64 v[78:79], v[28:29], -v[32:33]
	v_fma_f64 v[58:59], v[64:65], -0.5, v[76:77]
	v_add_f64_e64 v[76:77], v[26:27], -v[30:31]
	v_fma_f64 v[62:63], v[50:51], s[0:1], v[40:41]
	v_fma_f64 v[40:41], v[50:51], s[2:3], v[40:41]
	v_add_f64_e32 v[0:1], v[2:3], v[0:1]
	v_add_f64_e32 v[2:3], v[30:31], v[92:93]
	;; [unrolled: 1-line block ×3, first 2 shown]
	v_add_f64_e64 v[26:27], v[30:31], -v[26:27]
	v_add_f64_e32 v[80:81], v[82:83], v[80:81]
	v_add_f64_e32 v[82:83], v[86:87], v[84:85]
	v_fma_f64 v[70:71], v[46:47], s[0:1], v[38:39]
	v_fma_f64 v[38:39], v[46:47], s[2:3], v[38:39]
	;; [unrolled: 1-line block ×6, first 2 shown]
	v_add_f64_e64 v[46:47], v[24:25], -v[22:23]
	v_fma_f64 v[10:11], v[72:73], s[2:3], v[34:35]
	v_fma_f64 v[30:31], v[74:75], s[0:1], v[48:49]
	;; [unrolled: 1-line block ×9, first 2 shown]
	v_add_f64_e32 v[0:1], v[4:5], v[0:1]
	v_add_f64_e32 v[2:3], v[32:33], v[2:3]
	;; [unrolled: 1-line block ×4, first 2 shown]
	v_fma_f64 v[68:69], v[42:43], s[12:13], v[70:71]
	v_fma_f64 v[38:39], v[42:43], s[8:9], v[38:39]
	v_add_f64_e64 v[42:43], v[18:19], -v[20:21]
	v_add_f64_e64 v[18:19], v[20:21], -v[18:19]
	v_add_f64_e32 v[20:21], v[20:21], v[88:89]
	v_fma_f64 v[64:65], v[50:51], s[8:9], v[64:65]
	v_fma_f64 v[44:45], v[50:51], s[12:13], v[44:45]
	;; [unrolled: 1-line block ×4, first 2 shown]
	v_add_f64_e64 v[70:71], v[22:23], -v[24:25]
	v_fma_f64 v[8:9], v[74:75], s[12:13], v[10:11]
	v_fma_f64 v[10:11], v[72:73], s[12:13], v[30:31]
	;; [unrolled: 1-line block ×6, first 2 shown]
	v_add_f64_e32 v[6:7], v[6:7], v[0:1]
	v_add_f64_e32 v[4:5], v[12:13], v[4:5]
	v_fma_f64 v[66:67], v[56:57], s[14:15], v[68:69]
	v_fma_f64 v[38:39], v[56:57], s[14:15], v[38:39]
	;; [unrolled: 1-line block ×3, first 2 shown]
	v_add_f64_e32 v[42:43], v[46:47], v[42:43]
	v_add_f64_e32 v[20:21], v[22:23], v[20:21]
	;; [unrolled: 1-line block ×3, first 2 shown]
	v_fma_f64 v[22:23], v[74:75], s[8:9], v[34:35]
	v_fma_f64 v[34:35], v[80:81], s[14:15], v[62:63]
	;; [unrolled: 1-line block ×3, first 2 shown]
	v_add_f64_e32 v[18:19], v[70:71], v[18:19]
	v_fma_f64 v[44:45], v[82:83], s[14:15], v[44:45]
	v_mul_f64_e32 v[52:53], s[20:21], v[50:51]
	v_mul_f64_e32 v[50:51], s[12:13], v[50:51]
	;; [unrolled: 1-line block ×4, first 2 shown]
	v_fma_f64 v[16:17], v[16:17], s[12:13], v[56:57]
	v_fma_f64 v[56:57], v[90:91], s[12:13], v[58:59]
	v_mul_f64_e32 v[58:59], s[16:17], v[36:37]
	v_mul_f64_e32 v[36:37], s[12:13], v[36:37]
	;; [unrolled: 1-line block ×4, first 2 shown]
	v_add_f64_e32 v[20:21], v[24:25], v[20:21]
	v_add_f64_e32 v[24:25], v[28:29], v[2:3]
	v_fma_f64 v[8:9], v[42:43], s[14:15], v[8:9]
	v_fma_f64 v[42:43], v[42:43], s[14:15], v[22:23]
	;; [unrolled: 1-line block ×16, first 2 shown]
	v_add_f64_e64 v[2:3], v[20:21], -v[6:7]
	v_add_f64_e64 v[0:1], v[24:25], -v[4:5]
	v_add_f64_e32 v[6:7], v[20:21], v[6:7]
	v_add_f64_e32 v[4:5], v[24:25], v[4:5]
	v_add_f64_e64 v[10:11], v[8:9], -v[22:23]
	v_add_f64_e32 v[22:23], v[8:9], v[22:23]
	v_add_f64_e64 v[14:15], v[12:13], -v[30:31]
	v_add_f64_e64 v[18:19], v[28:29], -v[52:53]
	v_add_f64_e32 v[26:27], v[12:13], v[30:31]
	v_add_f64_e32 v[30:31], v[28:29], v[52:53]
	;; [unrolled: 1-line block ×5, first 2 shown]
	v_add_f64_e64 v[42:43], v[42:43], -v[56:57]
	v_add_f64_e32 v[24:25], v[54:55], v[44:45]
	v_add_f64_e32 v[20:21], v[64:65], v[48:49]
	v_add_f64_e64 v[40:41], v[46:47], -v[36:37]
	v_add_f64_e64 v[16:17], v[16:17], -v[38:39]
	;; [unrolled: 1-line block ×4, first 2 shown]
	ds_store_b128 v252, v[4:7] offset:1600
	ds_store_b128 v252, v[32:35] offset:4160
	;; [unrolled: 1-line block ×10, first 2 shown]
.LBB0_21:
	s_or_b32 exec_lo, exec_lo, s22
	global_wb scope:SCOPE_SE
	s_wait_dscnt 0x0
	s_barrier_signal -1
	s_barrier_wait -1
	global_inv scope:SCOPE_SE
	ds_load_b128 v[0:3], v252
	ds_load_b128 v[4:7], v252 offset:2560
	ds_load_b128 v[8:11], v252 offset:5120
	;; [unrolled: 1-line block ×5, first 2 shown]
	s_clause 0x3
	scratch_load_b128 v[94:97], off, off offset:52 th:TH_LOAD_LU
	scratch_load_b128 v[100:103], off, off offset:84 th:TH_LOAD_LU
	;; [unrolled: 1-line block ×3, first 2 shown]
	scratch_load_b64 v[24:25], off, off offset:4 th:TH_LOAD_LU
	s_mul_u64 s[0:1], s[4:5], 0xa0
	s_mov_b32 s2, 0x47ae147b
	s_mov_b32 s3, 0x3f447ae1
	s_mul_i32 s8, s5, 0x1400
	s_wait_loadcnt_dscnt 0x305
	v_mul_f64_e32 v[36:37], v[96:97], v[2:3]
	v_mul_f64_e32 v[38:39], v[96:97], v[0:1]
	scratch_load_b128 v[96:99], off, off offset:68 th:TH_LOAD_LU ; 16-byte Folded Reload
	s_wait_loadcnt 0x1
	v_mov_b32_e32 v68, v24
	ds_load_b128 v[24:27], v252 offset:15360
	ds_load_b128 v[28:31], v252 offset:17920
	scratch_load_b32 v70, off, off th:TH_LOAD_LU ; 4-byte Folded Reload
	ds_load_b128 v[32:35], v252 offset:20480
	ds_load_b128 v[40:43], v252 offset:23040
	scratch_load_b128 v[108:111], off, off offset:132 th:TH_LOAD_LU ; 16-byte Folded Reload
	s_wait_dscnt 0x7
	v_mul_f64_e32 v[48:49], v[102:103], v[10:11]
	v_mul_f64_e32 v[50:51], v[102:103], v[8:9]
	scratch_load_b128 v[102:105], off, off offset:100 th:TH_LOAD_LU ; 16-byte Folded Reload
	v_mad_co_u64_u32 v[56:57], null, s6, v68, 0
	scratch_load_b128 v[86:89], off, off offset:20 th:TH_LOAD_LU ; 16-byte Folded Reload
	v_mul_f64_e32 v[44:45], v[92:93], v[6:7]
	v_mul_f64_e32 v[46:47], v[92:93], v[4:5]
	v_fma_f64 v[0:1], v[94:95], v[0:1], v[36:37]
	v_fma_f64 v[2:3], v[94:95], v[2:3], -v[38:39]
	v_fma_f64 v[8:9], v[100:101], v[8:9], v[48:49]
	v_fma_f64 v[10:11], v[100:101], v[10:11], -v[50:51]
	;; [unrolled: 2-line block ×3, first 2 shown]
	s_wait_alu 0xfffe
	v_mul_f64_e32 v[0:1], s[2:3], v[0:1]
	v_mul_f64_e32 v[2:3], s[2:3], v[2:3]
	;; [unrolled: 1-line block ×6, first 2 shown]
	s_wait_loadcnt_dscnt 0x406
	v_mul_f64_e32 v[52:53], v[98:99], v[14:15]
	v_mul_f64_e32 v[54:55], v[98:99], v[12:13]
	s_wait_loadcnt 0x3
	v_mad_co_u64_u32 v[58:59], null, s4, v70, 0
	s_wait_loadcnt_dscnt 0x205
	v_mul_f64_e32 v[60:61], v[110:111], v[18:19]
	v_mul_f64_e32 v[62:63], v[110:111], v[16:17]
	scratch_load_b128 v[110:113], off, off offset:148 th:TH_LOAD_LU ; 16-byte Folded Reload
	s_wait_loadcnt_dscnt 0x204
	v_mul_f64_e32 v[64:65], v[104:105], v[22:23]
	v_mul_f64_e32 v[66:67], v[104:105], v[20:21]
	scratch_load_b128 v[104:107], off, off offset:116 th:TH_LOAD_LU ; 16-byte Folded Reload
	v_mad_co_u64_u32 v[68:69], null, s7, v68, v[57:58]
	s_lshl_b64 s[6:7], s[0:1], 4
	s_delay_alu instid0(VALU_DEP_1) | instskip(NEXT) | instid1(VALU_DEP_1)
	v_mov_b32_e32 v57, v68
	v_lshlrev_b64_e32 v[36:37], 4, v[56:57]
	scratch_load_b32 v57, off, off offset:16 th:TH_LOAD_LU ; 4-byte Folded Reload
	s_wait_loadcnt_dscnt 0x301
	v_mul_f64_e32 v[78:79], v[88:89], v[34:35]
	v_mul_f64_e32 v[80:81], v[88:89], v[32:33]
	v_fma_f64 v[12:13], v[96:97], v[12:13], v[52:53]
	scratch_load_b32 v52, off, off offset:12 th:TH_LOAD_LU ; 4-byte Folded Reload
	v_fma_f64 v[14:15], v[96:97], v[14:15], -v[54:55]
	v_mad_co_u64_u32 v[69:70], null, s5, v70, v[59:60]
	v_fma_f64 v[16:17], v[108:109], v[16:17], v[60:61]
	v_fma_f64 v[18:19], v[108:109], v[18:19], -v[62:63]
	v_fma_f64 v[20:21], v[102:103], v[20:21], v[64:65]
	v_fma_f64 v[22:23], v[102:103], v[22:23], -v[66:67]
	v_mov_b32_e32 v59, v69
	s_delay_alu instid0(VALU_DEP_1) | instskip(SKIP_3) | instid1(VALU_DEP_2)
	v_lshlrev_b64_e32 v[38:39], 4, v[58:59]
	v_add_co_u32 v59, s0, s10, v36
	s_wait_alu 0xf1ff
	v_add_co_ci_u32_e64 v68, s0, s11, v37, s0
	v_add_co_u32 v48, s0, v59, v38
	s_wait_alu 0xf1ff
	s_delay_alu instid0(VALU_DEP_2)
	v_add_co_ci_u32_e64 v49, s0, v68, v39, s0
	v_fma_f64 v[32:33], v[86:87], v[32:33], v[78:79]
	v_fma_f64 v[34:35], v[86:87], v[34:35], -v[80:81]
	v_mul_f64_e32 v[12:13], s[2:3], v[12:13]
	v_mul_f64_e32 v[14:15], s[2:3], v[14:15]
	;; [unrolled: 1-line block ×8, first 2 shown]
	s_wait_loadcnt 0x3
	v_mul_f64_e32 v[70:71], v[112:113], v[26:27]
	v_mul_f64_e32 v[72:73], v[112:113], v[24:25]
	scratch_load_b128 v[112:115], off, off offset:164 th:TH_LOAD_LU ; 16-byte Folded Reload
	s_wait_loadcnt 0x3
	v_mul_f64_e32 v[74:75], v[106:107], v[30:31]
	v_mul_f64_e32 v[76:77], v[106:107], v[28:29]
	s_wait_loadcnt 0x2
	v_mad_co_u64_u32 v[46:47], null, s4, v57, 0
	s_wait_loadcnt 0x1
	v_mad_co_u64_u32 v[44:45], null, s4, v52, 0
	v_fma_f64 v[24:25], v[110:111], v[24:25], v[70:71]
	v_fma_f64 v[26:27], v[110:111], v[26:27], -v[72:73]
	v_fma_f64 v[28:29], v[104:105], v[28:29], v[74:75]
	v_fma_f64 v[30:31], v[104:105], v[30:31], -v[76:77]
	s_delay_alu instid0(VALU_DEP_4) | instskip(NEXT) | instid1(VALU_DEP_4)
	v_mul_f64_e32 v[24:25], s[2:3], v[24:25]
	v_mul_f64_e32 v[26:27], s[2:3], v[26:27]
	s_delay_alu instid0(VALU_DEP_4) | instskip(NEXT) | instid1(VALU_DEP_4)
	v_mul_f64_e32 v[28:29], s[2:3], v[28:29]
	v_mul_f64_e32 v[30:31], s[2:3], v[30:31]
	s_wait_loadcnt_dscnt 0x0
	v_mul_f64_e32 v[82:83], v[114:115], v[42:43]
	v_mul_f64_e32 v[84:85], v[114:115], v[40:41]
	s_delay_alu instid0(VALU_DEP_2) | instskip(NEXT) | instid1(VALU_DEP_2)
	v_fma_f64 v[36:37], v[112:113], v[40:41], v[82:83]
	v_fma_f64 v[38:39], v[112:113], v[42:43], -v[84:85]
	s_wait_alu 0xfffe
	v_add_co_u32 v41, s0, v48, s6
	s_wait_alu 0xf1ff
	v_add_co_ci_u32_e64 v42, s0, s7, v49, s0
	v_mov_b32_e32 v40, v45
	s_delay_alu instid0(VALU_DEP_3) | instskip(SKIP_1) | instid1(VALU_DEP_3)
	v_add_co_u32 v50, s0, v41, s6
	s_wait_alu 0xf1ff
	v_add_co_ci_u32_e64 v51, s0, s7, v42, s0
	s_delay_alu instid0(VALU_DEP_3) | instskip(NEXT) | instid1(VALU_DEP_3)
	v_mad_co_u64_u32 v[52:53], null, s5, v52, v[40:41]
	v_add_co_u32 v53, s0, v50, s6
	s_wait_alu 0xf1ff
	s_delay_alu instid0(VALU_DEP_3)
	v_add_co_ci_u32_e64 v54, s0, s7, v51, s0
	s_clause 0x3
	global_store_b128 v[48:49], v[0:3], off
	global_store_b128 v[41:42], v[4:7], off
	;; [unrolled: 1-line block ×4, first 2 shown]
	v_mov_b32_e32 v45, v52
	v_mad_co_u64_u32 v[55:56], null, 0x1400, s4, v[53:54]
	v_mov_b32_e32 v43, v47
	s_delay_alu instid0(VALU_DEP_3) | instskip(NEXT) | instid1(VALU_DEP_3)
	v_lshlrev_b64_e32 v[0:1], 4, v[44:45]
	v_add_nc_u32_e32 v56, s8, v56
	s_delay_alu instid0(VALU_DEP_4) | instskip(NEXT) | instid1(VALU_DEP_4)
	v_add_co_u32 v2, s0, v55, s6
	v_mad_co_u64_u32 v[57:58], null, s5, v57, v[43:44]
	s_wait_alu 0xf1ff
	s_delay_alu instid0(VALU_DEP_3) | instskip(NEXT) | instid1(VALU_DEP_3)
	v_add_co_ci_u32_e64 v3, s0, s7, v56, s0
	v_add_co_u32 v4, s0, v2, s6
	v_mul_f64_e32 v[36:37], s[2:3], v[36:37]
	v_mul_f64_e32 v[38:39], s[2:3], v[38:39]
	s_wait_alu 0xf1ff
	v_add_co_ci_u32_e64 v5, s0, s7, v3, s0
	v_mov_b32_e32 v47, v57
	v_add_co_u32 v6, s0, v59, v0
	s_wait_alu 0xf1ff
	v_add_co_ci_u32_e64 v7, s0, v68, v1, s0
	v_mad_co_u64_u32 v[0:1], null, 0x1400, s4, v[4:5]
	v_lshlrev_b64_e32 v[8:9], 4, v[46:47]
	s_clause 0x1
	global_store_b128 v[6:7], v[16:19], off
	global_store_b128 v[55:56], v[20:23], off
	v_add_co_u32 v6, s0, v59, v8
	v_add_nc_u32_e32 v1, s8, v1
	s_wait_alu 0xf1ff
	v_add_co_ci_u32_e64 v7, s0, v68, v9, s0
	global_store_b128 v[2:3], v[24:27], off
	global_store_b128 v[4:5], v[28:31], off
	;; [unrolled: 1-line block ×4, first 2 shown]
	s_and_b32 exec_lo, exec_lo, vcc_lo
	s_cbranch_execz .LBB0_23
; %bb.22:
	global_load_b128 v[2:5], v[253:254], off offset:1600
	ds_load_b128 v[6:9], v252 offset:1600
	ds_load_b128 v[10:13], v252 offset:4160
	s_mul_i32 s0, s5, 0xffffac40
	s_wait_alu 0xfffe
	s_sub_co_i32 s0, s0, s4
	s_wait_loadcnt_dscnt 0x1
	v_mul_f64_e32 v[14:15], v[8:9], v[4:5]
	v_mul_f64_e32 v[4:5], v[6:7], v[4:5]
	s_delay_alu instid0(VALU_DEP_2) | instskip(NEXT) | instid1(VALU_DEP_2)
	v_fma_f64 v[6:7], v[6:7], v[2:3], v[14:15]
	v_fma_f64 v[4:5], v[2:3], v[8:9], -v[4:5]
	s_delay_alu instid0(VALU_DEP_2) | instskip(NEXT) | instid1(VALU_DEP_2)
	v_mul_f64_e32 v[2:3], s[2:3], v[6:7]
	v_mul_f64_e32 v[4:5], s[2:3], v[4:5]
	v_mad_co_u64_u32 v[6:7], null, 0xffffac40, s4, v[0:1]
	s_wait_alu 0xfffe
	s_delay_alu instid0(VALU_DEP_1)
	v_add_nc_u32_e32 v7, s0, v7
	global_store_b128 v[6:7], v[2:5], off
	global_load_b128 v[0:3], v[253:254], off offset:4160
	s_wait_loadcnt_dscnt 0x0
	v_mul_f64_e32 v[4:5], v[12:13], v[2:3]
	v_mul_f64_e32 v[2:3], v[10:11], v[2:3]
	s_delay_alu instid0(VALU_DEP_2) | instskip(NEXT) | instid1(VALU_DEP_2)
	v_fma_f64 v[4:5], v[10:11], v[0:1], v[4:5]
	v_fma_f64 v[2:3], v[0:1], v[12:13], -v[2:3]
	v_add_co_u32 v12, vcc_lo, v6, s6
	s_wait_alu 0xfffd
	v_add_co_ci_u32_e32 v13, vcc_lo, s7, v7, vcc_lo
	s_delay_alu instid0(VALU_DEP_4) | instskip(NEXT) | instid1(VALU_DEP_4)
	v_mul_f64_e32 v[0:1], s[2:3], v[4:5]
	v_mul_f64_e32 v[2:3], s[2:3], v[2:3]
	global_store_b128 v[12:13], v[0:3], off
	global_load_b128 v[0:3], v[253:254], off offset:6720
	ds_load_b128 v[4:7], v252 offset:6720
	ds_load_b128 v[8:11], v252 offset:9280
	s_wait_loadcnt_dscnt 0x1
	v_mul_f64_e32 v[14:15], v[6:7], v[2:3]
	v_mul_f64_e32 v[2:3], v[4:5], v[2:3]
	s_delay_alu instid0(VALU_DEP_2) | instskip(NEXT) | instid1(VALU_DEP_2)
	v_fma_f64 v[4:5], v[4:5], v[0:1], v[14:15]
	v_fma_f64 v[2:3], v[0:1], v[6:7], -v[2:3]
	s_delay_alu instid0(VALU_DEP_2) | instskip(NEXT) | instid1(VALU_DEP_2)
	v_mul_f64_e32 v[0:1], s[2:3], v[4:5]
	v_mul_f64_e32 v[2:3], s[2:3], v[2:3]
	v_add_co_u32 v4, vcc_lo, v12, s6
	s_wait_alu 0xfffd
	v_add_co_ci_u32_e32 v5, vcc_lo, s7, v13, vcc_lo
	s_delay_alu instid0(VALU_DEP_2) | instskip(SKIP_1) | instid1(VALU_DEP_2)
	v_add_co_u32 v12, vcc_lo, v4, s6
	s_wait_alu 0xfffd
	v_add_co_ci_u32_e32 v13, vcc_lo, s7, v5, vcc_lo
	global_store_b128 v[4:5], v[0:3], off
	global_load_b128 v[0:3], v[253:254], off offset:9280
	s_wait_loadcnt_dscnt 0x0
	v_mul_f64_e32 v[6:7], v[10:11], v[2:3]
	v_mul_f64_e32 v[2:3], v[8:9], v[2:3]
	s_delay_alu instid0(VALU_DEP_2) | instskip(NEXT) | instid1(VALU_DEP_2)
	v_fma_f64 v[6:7], v[8:9], v[0:1], v[6:7]
	v_fma_f64 v[2:3], v[0:1], v[10:11], -v[2:3]
	s_delay_alu instid0(VALU_DEP_2) | instskip(NEXT) | instid1(VALU_DEP_2)
	v_mul_f64_e32 v[0:1], s[2:3], v[6:7]
	v_mul_f64_e32 v[2:3], s[2:3], v[2:3]
	global_store_b128 v[12:13], v[0:3], off
	global_load_b128 v[0:3], v[253:254], off offset:11840
	ds_load_b128 v[4:7], v252 offset:11840
	ds_load_b128 v[8:11], v252 offset:14400
	s_wait_loadcnt_dscnt 0x1
	v_mul_f64_e32 v[14:15], v[6:7], v[2:3]
	v_mul_f64_e32 v[2:3], v[4:5], v[2:3]
	s_delay_alu instid0(VALU_DEP_2) | instskip(NEXT) | instid1(VALU_DEP_2)
	v_fma_f64 v[4:5], v[4:5], v[0:1], v[14:15]
	v_fma_f64 v[2:3], v[0:1], v[6:7], -v[2:3]
	s_delay_alu instid0(VALU_DEP_2) | instskip(NEXT) | instid1(VALU_DEP_2)
	v_mul_f64_e32 v[0:1], s[2:3], v[4:5]
	v_mul_f64_e32 v[2:3], s[2:3], v[2:3]
	v_add_co_u32 v4, vcc_lo, v12, s6
	s_wait_alu 0xfffd
	v_add_co_ci_u32_e32 v5, vcc_lo, s7, v13, vcc_lo
	s_delay_alu instid0(VALU_DEP_2) | instskip(SKIP_1) | instid1(VALU_DEP_2)
	v_add_co_u32 v12, vcc_lo, v4, s6
	s_wait_alu 0xfffd
	v_add_co_ci_u32_e32 v13, vcc_lo, s7, v5, vcc_lo
	global_store_b128 v[4:5], v[0:3], off
	global_load_b128 v[0:3], v[253:254], off offset:14400
	s_wait_loadcnt_dscnt 0x0
	v_mul_f64_e32 v[6:7], v[10:11], v[2:3]
	v_mul_f64_e32 v[2:3], v[8:9], v[2:3]
	s_delay_alu instid0(VALU_DEP_2) | instskip(NEXT) | instid1(VALU_DEP_2)
	v_fma_f64 v[6:7], v[8:9], v[0:1], v[6:7]
	v_fma_f64 v[2:3], v[0:1], v[10:11], -v[2:3]
	s_delay_alu instid0(VALU_DEP_2) | instskip(NEXT) | instid1(VALU_DEP_2)
	;; [unrolled: 31-line block ×3, first 2 shown]
	v_mul_f64_e32 v[0:1], s[2:3], v[6:7]
	v_mul_f64_e32 v[2:3], s[2:3], v[2:3]
	global_store_b128 v[12:13], v[0:3], off
	global_load_b128 v[0:3], v[253:254], off offset:22080
	ds_load_b128 v[4:7], v252 offset:22080
	ds_load_b128 v[8:11], v252 offset:24640
	s_wait_loadcnt_dscnt 0x1
	v_mul_f64_e32 v[14:15], v[6:7], v[2:3]
	v_mul_f64_e32 v[2:3], v[4:5], v[2:3]
	s_delay_alu instid0(VALU_DEP_2) | instskip(NEXT) | instid1(VALU_DEP_2)
	v_fma_f64 v[4:5], v[4:5], v[0:1], v[14:15]
	v_fma_f64 v[2:3], v[0:1], v[6:7], -v[2:3]
	s_delay_alu instid0(VALU_DEP_2) | instskip(NEXT) | instid1(VALU_DEP_2)
	v_mul_f64_e32 v[0:1], s[2:3], v[4:5]
	v_mul_f64_e32 v[2:3], s[2:3], v[2:3]
	v_add_co_u32 v4, vcc_lo, v12, s6
	s_wait_alu 0xfffd
	v_add_co_ci_u32_e32 v5, vcc_lo, s7, v13, vcc_lo
	global_store_b128 v[4:5], v[0:3], off
	global_load_b128 v[0:3], v[253:254], off offset:24640
	v_add_co_u32 v4, vcc_lo, v4, s6
	s_wait_alu 0xfffd
	v_add_co_ci_u32_e32 v5, vcc_lo, s7, v5, vcc_lo
	s_wait_loadcnt_dscnt 0x0
	v_mul_f64_e32 v[6:7], v[10:11], v[2:3]
	v_mul_f64_e32 v[2:3], v[8:9], v[2:3]
	s_delay_alu instid0(VALU_DEP_2) | instskip(NEXT) | instid1(VALU_DEP_2)
	v_fma_f64 v[6:7], v[8:9], v[0:1], v[6:7]
	v_fma_f64 v[2:3], v[0:1], v[10:11], -v[2:3]
	s_delay_alu instid0(VALU_DEP_2) | instskip(NEXT) | instid1(VALU_DEP_2)
	v_mul_f64_e32 v[0:1], s[2:3], v[6:7]
	v_mul_f64_e32 v[2:3], s[2:3], v[2:3]
	global_store_b128 v[4:5], v[0:3], off
.LBB0_23:
	s_nop 0
	s_sendmsg sendmsg(MSG_DEALLOC_VGPRS)
	s_endpgm
	.section	.rodata,"a",@progbits
	.p2align	6, 0x0
	.amdhsa_kernel bluestein_single_fwd_len1600_dim1_dp_op_CI_CI
		.amdhsa_group_segment_fixed_size 51200
		.amdhsa_private_segment_fixed_size 304
		.amdhsa_kernarg_size 104
		.amdhsa_user_sgpr_count 2
		.amdhsa_user_sgpr_dispatch_ptr 0
		.amdhsa_user_sgpr_queue_ptr 0
		.amdhsa_user_sgpr_kernarg_segment_ptr 1
		.amdhsa_user_sgpr_dispatch_id 0
		.amdhsa_user_sgpr_private_segment_size 0
		.amdhsa_wavefront_size32 1
		.amdhsa_uses_dynamic_stack 0
		.amdhsa_enable_private_segment 1
		.amdhsa_system_sgpr_workgroup_id_x 1
		.amdhsa_system_sgpr_workgroup_id_y 0
		.amdhsa_system_sgpr_workgroup_id_z 0
		.amdhsa_system_sgpr_workgroup_info 0
		.amdhsa_system_vgpr_workitem_id 0
		.amdhsa_next_free_vgpr 256
		.amdhsa_next_free_sgpr 23
		.amdhsa_reserve_vcc 1
		.amdhsa_float_round_mode_32 0
		.amdhsa_float_round_mode_16_64 0
		.amdhsa_float_denorm_mode_32 3
		.amdhsa_float_denorm_mode_16_64 3
		.amdhsa_fp16_overflow 0
		.amdhsa_workgroup_processor_mode 1
		.amdhsa_memory_ordered 1
		.amdhsa_forward_progress 0
		.amdhsa_round_robin_scheduling 0
		.amdhsa_exception_fp_ieee_invalid_op 0
		.amdhsa_exception_fp_denorm_src 0
		.amdhsa_exception_fp_ieee_div_zero 0
		.amdhsa_exception_fp_ieee_overflow 0
		.amdhsa_exception_fp_ieee_underflow 0
		.amdhsa_exception_fp_ieee_inexact 0
		.amdhsa_exception_int_div_zero 0
	.end_amdhsa_kernel
	.text
.Lfunc_end0:
	.size	bluestein_single_fwd_len1600_dim1_dp_op_CI_CI, .Lfunc_end0-bluestein_single_fwd_len1600_dim1_dp_op_CI_CI
                                        ; -- End function
	.section	.AMDGPU.csdata,"",@progbits
; Kernel info:
; codeLenInByte = 22364
; NumSgprs: 25
; NumVgprs: 256
; ScratchSize: 304
; MemoryBound: 0
; FloatMode: 240
; IeeeMode: 1
; LDSByteSize: 51200 bytes/workgroup (compile time only)
; SGPRBlocks: 3
; VGPRBlocks: 31
; NumSGPRsForWavesPerEU: 25
; NumVGPRsForWavesPerEU: 256
; Occupancy: 4
; WaveLimiterHint : 1
; COMPUTE_PGM_RSRC2:SCRATCH_EN: 1
; COMPUTE_PGM_RSRC2:USER_SGPR: 2
; COMPUTE_PGM_RSRC2:TRAP_HANDLER: 0
; COMPUTE_PGM_RSRC2:TGID_X_EN: 1
; COMPUTE_PGM_RSRC2:TGID_Y_EN: 0
; COMPUTE_PGM_RSRC2:TGID_Z_EN: 0
; COMPUTE_PGM_RSRC2:TIDIG_COMP_CNT: 0
	.text
	.p2alignl 7, 3214868480
	.fill 96, 4, 3214868480
	.type	__hip_cuid_1076c0b20fdc23f3,@object ; @__hip_cuid_1076c0b20fdc23f3
	.section	.bss,"aw",@nobits
	.globl	__hip_cuid_1076c0b20fdc23f3
__hip_cuid_1076c0b20fdc23f3:
	.byte	0                               ; 0x0
	.size	__hip_cuid_1076c0b20fdc23f3, 1

	.ident	"AMD clang version 19.0.0git (https://github.com/RadeonOpenCompute/llvm-project roc-6.4.0 25133 c7fe45cf4b819c5991fe208aaa96edf142730f1d)"
	.section	".note.GNU-stack","",@progbits
	.addrsig
	.addrsig_sym __hip_cuid_1076c0b20fdc23f3
	.amdgpu_metadata
---
amdhsa.kernels:
  - .args:
      - .actual_access:  read_only
        .address_space:  global
        .offset:         0
        .size:           8
        .value_kind:     global_buffer
      - .actual_access:  read_only
        .address_space:  global
        .offset:         8
        .size:           8
        .value_kind:     global_buffer
      - .actual_access:  read_only
        .address_space:  global
        .offset:         16
        .size:           8
        .value_kind:     global_buffer
      - .actual_access:  read_only
        .address_space:  global
        .offset:         24
        .size:           8
        .value_kind:     global_buffer
      - .actual_access:  read_only
        .address_space:  global
        .offset:         32
        .size:           8
        .value_kind:     global_buffer
      - .offset:         40
        .size:           8
        .value_kind:     by_value
      - .address_space:  global
        .offset:         48
        .size:           8
        .value_kind:     global_buffer
      - .address_space:  global
        .offset:         56
        .size:           8
        .value_kind:     global_buffer
      - .address_space:  global
        .offset:         64
        .size:           8
        .value_kind:     global_buffer
      - .address_space:  global
        .offset:         72
        .size:           8
        .value_kind:     global_buffer
      - .offset:         80
        .size:           4
        .value_kind:     by_value
      - .address_space:  global
        .offset:         88
        .size:           8
        .value_kind:     global_buffer
      - .address_space:  global
        .offset:         96
        .size:           8
        .value_kind:     global_buffer
    .group_segment_fixed_size: 51200
    .kernarg_segment_align: 8
    .kernarg_segment_size: 104
    .language:       OpenCL C
    .language_version:
      - 2
      - 0
    .max_flat_workgroup_size: 200
    .name:           bluestein_single_fwd_len1600_dim1_dp_op_CI_CI
    .private_segment_fixed_size: 304
    .sgpr_count:     25
    .sgpr_spill_count: 0
    .symbol:         bluestein_single_fwd_len1600_dim1_dp_op_CI_CI.kd
    .uniform_work_group_size: 1
    .uses_dynamic_stack: false
    .vgpr_count:     256
    .vgpr_spill_count: 75
    .wavefront_size: 32
    .workgroup_processor_mode: 1
amdhsa.target:   amdgcn-amd-amdhsa--gfx1201
amdhsa.version:
  - 1
  - 2
...

	.end_amdgpu_metadata
